;; amdgpu-corpus repo=ROCm/rocFFT kind=compiled arch=gfx950 opt=O3
	.text
	.amdgcn_target "amdgcn-amd-amdhsa--gfx950"
	.amdhsa_code_object_version 6
	.protected	bluestein_single_fwd_len270_dim1_sp_op_CI_CI ; -- Begin function bluestein_single_fwd_len270_dim1_sp_op_CI_CI
	.globl	bluestein_single_fwd_len270_dim1_sp_op_CI_CI
	.p2align	8
	.type	bluestein_single_fwd_len270_dim1_sp_op_CI_CI,@function
bluestein_single_fwd_len270_dim1_sp_op_CI_CI: ; @bluestein_single_fwd_len270_dim1_sp_op_CI_CI
; %bb.0:
	s_load_dwordx4 s[16:19], s[0:1], 0x28
	v_mul_u32_u24_e32 v1, 0x97c, v0
	v_lshrrev_b32_e32 v1, 16, v1
	v_mov_b32_e32 v69, 0
	v_lshl_add_u32 v86, s2, 2, v1
	v_mov_b32_e32 v87, v69
	s_waitcnt lgkmcnt(0)
	v_cmp_gt_u64_e32 vcc, s[16:17], v[86:87]
	s_and_saveexec_b64 s[2:3], vcc
	s_cbranch_execz .LBB0_26
; %bb.1:
	s_load_dwordx4 s[4:7], s[0:1], 0x18
	s_load_dwordx4 s[8:11], s[0:1], 0x0
	v_mul_lo_u16_e32 v4, 27, v1
	v_sub_u16_e32 v88, v0, v4
	v_mov_b32_e32 v2, s18
	s_waitcnt lgkmcnt(0)
	s_load_dwordx4 s[12:15], s[4:5], 0x0
	v_mov_b32_e32 v3, s19
	v_lshlrev_b32_e32 v68, 3, v88
	s_mov_b32 s16, 0x3e9e377a
	v_mov_b32_e32 v89, v69
	s_waitcnt lgkmcnt(0)
	v_mad_u64_u32 v[4:5], s[2:3], s14, v86, 0
	v_mov_b32_e32 v0, v5
	v_mad_u64_u32 v[6:7], s[2:3], s15, v86, v[0:1]
	v_mov_b32_e32 v5, v6
	;; [unrolled: 2-line block ×4, first 2 shown]
	v_lshl_add_u64 v[2:3], v[4:5], 3, v[2:3]
	v_lshl_add_u64 v[2:3], v[6:7], 3, v[2:3]
	v_mov_b32_e32 v0, 0xd8
	global_load_dwordx2 v[4:5], v[2:3], off
	v_mad_u64_u32 v[2:3], s[2:3], s12, v0, v[2:3]
	s_mul_i32 s4, s13, 0xd8
	v_add_u32_e32 v3, s4, v3
	global_load_dwordx2 v[6:7], v[2:3], off
	global_load_dwordx2 v[94:95], v68, s[8:9]
	v_mad_u64_u32 v[2:3], s[2:3], s12, v0, v[2:3]
	v_add_u32_e32 v3, s4, v3
	v_mad_u64_u32 v[8:9], s[2:3], s12, v0, v[2:3]
	v_add_u32_e32 v9, s4, v9
	global_load_dwordx2 v[92:93], v68, s[8:9] offset:216
	global_load_dwordx2 v[90:91], v68, s[8:9] offset:432
	;; [unrolled: 1-line block ×3, first 2 shown]
	global_load_dwordx2 v[10:11], v[2:3], off
	v_mad_u64_u32 v[2:3], s[2:3], s12, v0, v[8:9]
	v_add_u32_e32 v3, s4, v3
	global_load_dwordx2 v[12:13], v[8:9], off
	global_load_dwordx2 v[14:15], v[2:3], off
	v_mad_u64_u32 v[2:3], s[2:3], s12, v0, v[2:3]
	v_add_u32_e32 v3, s4, v3
	global_load_dwordx2 v[80:81], v68, s[8:9] offset:864
	global_load_dwordx2 v[8:9], v[2:3], off
	v_mad_u64_u32 v[2:3], s[2:3], s12, v0, v[2:3]
	v_add_u32_e32 v3, s4, v3
	global_load_dwordx2 v[16:17], v[2:3], off
	v_mad_u64_u32 v[2:3], s[2:3], s12, v0, v[2:3]
	global_load_dwordx2 v[82:83], v68, s[8:9] offset:1080
	global_load_dwordx2 v[84:85], v68, s[8:9] offset:1296
	v_add_u32_e32 v3, s4, v3
	global_load_dwordx2 v[18:19], v[2:3], off
	global_load_dwordx2 v[74:75], v68, s[8:9] offset:1512
	v_mad_u64_u32 v[2:3], s[2:3], s12, v0, v[2:3]
	v_add_u32_e32 v3, s4, v3
	global_load_dwordx2 v[20:21], v[2:3], off
	global_load_dwordx2 v[78:79], v68, s[8:9] offset:1728
	v_mad_u64_u32 v[2:3], s[2:3], s12, v0, v[2:3]
	v_add_u32_e32 v3, s4, v3
	global_load_dwordx2 v[76:77], v68, s[8:9] offset:1944
	global_load_dwordx2 v[22:23], v[2:3], off
	v_and_b32_e32 v0, 3, v1
	v_mul_u32_u24_e32 v0, 0x10e, v0
	v_lshlrev_b32_e32 v112, 3, v0
	v_add_u32_e32 v87, v112, v68
	s_load_dwordx4 s[4:7], s[6:7], 0x0
	s_mov_b32 s2, 0x3f737871
	s_mov_b32 s14, 0x3f167918
	s_load_dwordx2 s[12:13], s[0:1], 0x38
	s_mov_b32 s0, 0xbf167918
	s_mov_b32 s1, s14
	v_cmp_gt_u16_e32 vcc, 9, v88
	s_waitcnt vmcnt(17)
	v_mul_f32_e32 v0, v5, v95
	v_mul_f32_e32 v1, v4, v95
	v_fmac_f32_e32 v0, v4, v94
	v_fma_f32 v1, v5, v94, -v1
	s_waitcnt vmcnt(16)
	v_mul_f32_e32 v2, v7, v93
	v_mul_f32_e32 v3, v6, v93
	v_fmac_f32_e32 v2, v6, v92
	v_fma_f32 v3, v7, v92, -v3
	ds_write2_b64 v87, v[0:1], v[2:3] offset1:27
	s_waitcnt vmcnt(13)
	v_mul_f32_e32 v0, v11, v91
	v_mul_f32_e32 v1, v10, v91
	s_waitcnt vmcnt(12)
	v_mul_f32_e32 v2, v13, v73
	v_mul_f32_e32 v3, v12, v73
	v_fmac_f32_e32 v0, v10, v90
	v_fma_f32 v1, v11, v90, -v1
	v_fmac_f32_e32 v2, v12, v72
	v_fma_f32 v3, v13, v72, -v3
	ds_write2_b64 v87, v[0:1], v[2:3] offset0:54 offset1:81
	s_waitcnt vmcnt(10)
	v_mul_f32_e32 v0, v15, v81
	v_mul_f32_e32 v1, v14, v81
	s_waitcnt vmcnt(7)
	v_mul_f32_e32 v2, v9, v83
	v_mul_f32_e32 v3, v8, v83
	v_fmac_f32_e32 v0, v14, v80
	v_fma_f32 v1, v15, v80, -v1
	v_fmac_f32_e32 v2, v8, v82
	v_fma_f32 v3, v9, v82, -v3
	ds_write2_b64 v87, v[0:1], v[2:3] offset0:108 offset1:135
	;; [unrolled: 11-line block ×4, first 2 shown]
	s_waitcnt lgkmcnt(0)
	s_barrier
	ds_read2_b64 v[0:3], v87 offset1:27
	ds_read2_b64 v[4:7], v87 offset0:54 offset1:81
	ds_read2_b64 v[8:11], v87 offset0:216 offset1:243
	;; [unrolled: 1-line block ×4, first 2 shown]
	s_waitcnt lgkmcnt(0)
	v_pk_add_f32 v[20:21], v[0:1], v[4:5]
	v_pk_add_f32 v[22:23], v[2:3], v[6:7]
	v_pk_add_f32 v[20:21], v[20:21], v[12:13]
	v_pk_add_f32 v[22:23], v[22:23], v[14:15]
	v_pk_add_f32 v[24:25], v[4:5], v[8:9] neg_lo:[0,1] neg_hi:[0,1]
	v_pk_add_f32 v[30:31], v[6:7], v[10:11] neg_lo:[0,1] neg_hi:[0,1]
	v_pk_add_f32 v[32:33], v[6:7], v[10:11]
	v_pk_add_f32 v[34:35], v[14:15], v[6:7] neg_lo:[0,1] neg_hi:[0,1]
	v_pk_add_f32 v[6:7], v[6:7], v[14:15] neg_lo:[0,1] neg_hi:[0,1]
	v_pk_add_f32 v[36:37], v[12:13], v[16:17]
	v_pk_add_f32 v[38:39], v[14:15], v[18:19] neg_lo:[0,1] neg_hi:[0,1]
	v_pk_add_f32 v[14:15], v[14:15], v[18:19]
	v_pk_add_f32 v[20:21], v[20:21], v[16:17]
	;; [unrolled: 1-line block ×3, first 2 shown]
	v_pk_add_f32 v[26:27], v[4:5], v[12:13] neg_lo:[0,1] neg_hi:[0,1]
	v_pk_add_f32 v[28:29], v[4:5], v[8:9]
	v_pk_add_f32 v[4:5], v[12:13], v[4:5] neg_lo:[0,1] neg_hi:[0,1]
	v_pk_add_f32 v[12:13], v[12:13], v[16:17] neg_lo:[0,1] neg_hi:[0,1]
	;; [unrolled: 1-line block ×6, first 2 shown]
	v_pk_add_f32 v[8:9], v[20:21], v[8:9]
	v_pk_add_f32 v[10:11], v[22:23], v[10:11]
	v_pk_fma_f32 v[20:21], v[36:37], 0.5, v[0:1] op_sel_hi:[1,0,1] neg_lo:[1,0,0] neg_hi:[1,0,0]
	v_pk_fma_f32 v[22:23], v[32:33], 0.5, v[2:3] op_sel_hi:[1,0,1] neg_lo:[1,0,0] neg_hi:[1,0,0]
	;; [unrolled: 1-line block ×3, first 2 shown]
	v_pk_mul_f32 v[14:15], v[24:25], s[2:3] op_sel_hi:[1,0]
	v_pk_fma_f32 v[0:1], v[28:29], 0.5, v[0:1] op_sel_hi:[1,0,1] neg_lo:[1,0,0] neg_hi:[1,0,0]
	v_pk_add_f32 v[28:29], v[20:21], v[14:15] op_sel:[0,1] op_sel_hi:[1,0] neg_lo:[0,1] neg_hi:[0,1]
	v_pk_add_f32 v[14:15], v[20:21], v[14:15] op_sel:[0,1] op_sel_hi:[1,0]
	v_pk_mul_f32 v[20:21], v[12:13], s[14:15] op_sel_hi:[1,0]
	v_pk_add_f32 v[4:5], v[4:5], v[16:17]
	v_pk_add_f32 v[28:29], v[28:29], v[20:21] op_sel:[0,1] op_sel_hi:[1,0] neg_lo:[0,1] neg_hi:[0,1]
	v_pk_add_f32 v[14:15], v[20:21], v[14:15] op_sel:[1,0] op_sel_hi:[0,1]
	v_pk_add_f32 v[20:21], v[26:27], v[40:41]
	v_mov_b32_e32 v26, v14
	v_mov_b32_e32 v27, v29
	;; [unrolled: 1-line block ×3, first 2 shown]
	v_pk_fma_f32 v[14:15], v[20:21], s[16:17], v[26:27] op_sel_hi:[1,0,1]
	v_pk_mul_f32 v[26:27], v[38:39], s[2:3] op_sel_hi:[1,0]
	v_pk_fma_f32 v[20:21], v[20:21], s[16:17], v[28:29] op_sel_hi:[1,0,1]
	v_pk_add_f32 v[28:29], v[22:23], v[26:27] op_sel:[0,1] op_sel_hi:[1,0] neg_lo:[0,1] neg_hi:[0,1]
	v_pk_add_f32 v[22:23], v[22:23], v[26:27] op_sel:[0,1] op_sel_hi:[1,0]
	v_pk_mul_f32 v[26:27], v[30:31], s[14:15] op_sel_hi:[1,0]
	v_pk_add_f32 v[16:17], v[34:35], v[42:43]
	v_pk_add_f32 v[22:23], v[22:23], v[26:27] op_sel:[0,1] op_sel_hi:[1,0] neg_lo:[0,1] neg_hi:[0,1]
	v_pk_add_f32 v[26:27], v[28:29], v[26:27] op_sel:[0,1] op_sel_hi:[1,0]
	v_mov_b32_e32 v29, v23
	v_mov_b32_e32 v28, v26
	v_pk_fma_f32 v[28:29], v[16:17], s[16:17], v[28:29] op_sel_hi:[1,0,1]
	v_pk_add_f32 v[6:7], v[6:7], v[18:19]
	v_pk_mul_f32 v[32:33], v[28:29], s[2:3] op_sel_hi:[1,0]
	v_pk_mul_f32 v[18:19], v[30:31], s[2:3] op_sel_hi:[1,0]
	v_pk_fma_f32 v[34:35], v[28:29], s[16:17], v[32:33] op_sel:[0,0,1] op_sel_hi:[1,0,0]
	v_pk_fma_f32 v[28:29], v[28:29], s[16:17], v[32:33] op_sel:[0,0,1] op_sel_hi:[1,0,0] neg_lo:[0,0,1] neg_hi:[0,0,1]
	v_mov_b32_e32 v23, v27
	v_mov_b32_e32 v35, v29
	v_pk_add_f32 v[28:29], v[2:3], v[18:19] op_sel:[0,1] op_sel_hi:[1,0]
	v_pk_add_f32 v[2:3], v[2:3], v[18:19] op_sel:[0,1] op_sel_hi:[1,0] neg_lo:[0,1] neg_hi:[0,1]
	v_pk_mul_f32 v[18:19], v[38:39], s[14:15] op_sel_hi:[1,0]
	s_barrier
	v_pk_add_f32 v[28:29], v[18:19], v[28:29] op_sel:[1,0] op_sel_hi:[0,1]
	v_pk_add_f32 v[2:3], v[2:3], v[18:19] op_sel:[0,1] op_sel_hi:[1,0] neg_lo:[0,1] neg_hi:[0,1]
	s_nop 0
	v_pk_fma_f32 v[18:19], v[6:7], s[16:17], v[2:3] op_sel_hi:[1,0,1]
	v_mov_b32_e32 v3, v29
	v_pk_fma_f32 v[2:3], v[6:7], s[16:17], v[2:3] op_sel_hi:[1,0,1]
	v_pk_fma_f32 v[28:29], v[6:7], s[16:17], v[28:29] op_sel_hi:[1,0,1]
	v_pk_mul_f32 v[6:7], v[2:3], s[0:1]
	s_mov_b32 s0, 0xbf4f1bbd
	v_pk_fma_f32 v[6:7], v[2:3], s[0:1], v[6:7] op_sel:[0,0,1] op_sel_hi:[1,0,0]
	v_pk_mul_f32 v[2:3], v[12:13], s[2:3] op_sel_hi:[1,0]
	s_mov_b32 s0, 0x3f4f1bbd
	v_pk_add_f32 v[12:13], v[0:1], v[2:3] op_sel:[0,1] op_sel_hi:[1,0] neg_lo:[0,1] neg_hi:[0,1]
	v_pk_add_f32 v[0:1], v[0:1], v[2:3] op_sel:[0,1] op_sel_hi:[1,0]
	v_mul_lo_u16_e32 v2, 10, v88
	v_lshl_add_u32 v106, v2, 3, v112
	v_pk_mul_f32 v[2:3], v[24:25], s[14:15] op_sel_hi:[1,0]
	s_mov_b32 s15, s0
	v_pk_add_f32 v[24:25], v[0:1], v[2:3] op_sel:[0,1] op_sel_hi:[1,0] neg_lo:[0,1] neg_hi:[0,1]
	v_pk_mul_f32 v[0:1], v[28:29], s[0:1] op_sel_hi:[0,1]
	v_pk_fma_f32 v[28:29], v[18:19], s[14:15], v[0:1] op_sel:[1,0,0]
	v_pk_fma_f32 v[0:1], v[18:19], s[14:15], v[0:1] op_sel:[1,0,0] neg_lo:[0,0,1] neg_hi:[0,0,1]
	v_pk_add_f32 v[12:13], v[12:13], v[2:3] op_sel:[0,1] op_sel_hi:[1,0]
	v_mov_b32_e32 v29, v1
	v_pk_add_f32 v[0:1], v[8:9], v[10:11]
	v_pk_add_f32 v[2:3], v[14:15], v[28:29]
	ds_write_b128 v106, v[0:3]
	v_pk_fma_f32 v[2:3], v[16:17], s[16:17], v[22:23] op_sel_hi:[1,0,1]
	v_mov_b32_e32 v0, v12
	v_mov_b32_e32 v1, v25
	s_mov_b32 s0, 0xbf737871
	s_mov_b32 s1, s2
	v_pk_mul_f32 v[16:17], v[2:3], s[16:17] op_sel_hi:[1,0]
	v_mov_b32_e32 v25, v13
	v_pk_fma_f32 v[18:19], v[4:5], s[16:17], v[0:1] op_sel_hi:[1,0,1]
	v_pk_fma_f32 v[22:23], v[2:3], s[0:1], v[16:17] op_sel:[0,0,1] op_sel_hi:[1,1,0] neg_lo:[0,0,1] neg_hi:[0,0,1]
	v_pk_fma_f32 v[4:5], v[4:5], s[16:17], v[24:25] op_sel_hi:[1,0,1]
	v_pk_add_f32 v[0:1], v[18:19], v[34:35]
	v_pk_add_f32 v[2:3], v[4:5], v[22:23] op_sel:[0,1] op_sel_hi:[1,0]
	ds_write_b128 v106, v[0:3] offset:16
	v_pk_add_f32 v[0:1], v[20:21], v[6:7]
	v_pk_add_f32 v[2:3], v[8:9], v[10:11] neg_lo:[0,1] neg_hi:[0,1]
	v_pk_add_f32 v[16:17], v[20:21], v[6:7] neg_lo:[0,1] neg_hi:[0,1]
	ds_write_b128 v106, v[0:3] offset:32
	v_pk_add_f32 v[0:1], v[14:15], v[28:29] neg_lo:[0,1] neg_hi:[0,1]
	v_pk_add_f32 v[2:3], v[18:19], v[34:35] neg_lo:[0,1] neg_hi:[0,1]
	v_pk_add_f32 v[14:15], v[4:5], v[22:23] op_sel:[0,1] op_sel_hi:[1,0] neg_lo:[0,1] neg_hi:[0,1]
	ds_write_b128 v106, v[0:3] offset:48
	ds_write_b128 v106, v[14:17] offset:64
	s_waitcnt lgkmcnt(0)
	s_barrier
	ds_read2_b64 v[28:31], v87 offset1:27
	ds_read2_b64 v[12:15], v87 offset0:54 offset1:90
	ds_read2_b64 v[32:35], v87 offset0:180 offset1:207
	;; [unrolled: 1-line block ×3, first 2 shown]
	ds_read_b64 v[36:37], v87 offset:1872
	v_cmp_lt_u16_e64 s[0:1], 8, v88
                                        ; implicit-def: $vgpr18
                                        ; implicit-def: $vgpr40
                                        ; implicit-def: $vgpr38
                                        ; implicit-def: $vgpr42
	s_and_saveexec_b64 s[2:3], vcc
	s_cbranch_execz .LBB0_3
; %bb.2:
	ds_read2_b64 v[16:19], v87 offset0:81 offset1:171
	ds_read_b64 v[38:39], v87 offset:2088
	s_waitcnt lgkmcnt(1)
	v_mov_b32_e32 v40, v19
	s_waitcnt lgkmcnt(0)
	v_mov_b32_e32 v42, v39
.LBB0_3:
	s_or_b64 exec, exec, s[2:3]
	s_mov_b64 s[2:3], 0x51
	v_lshl_add_u64 v[70:71], v[88:89], 0, s[2:3]
	s_movk_i32 s2, 0xcd
	v_mul_lo_u16_sdwa v0, v88, s2 dst_sel:DWORD dst_unused:UNUSED_PAD src0_sel:BYTE_0 src1_sel:DWORD
	v_lshrrev_b16_e32 v19, 11, v0
	v_mul_lo_u16_e32 v0, 10, v19
	v_sub_u16_e32 v39, v88, v0
	v_lshlrev_b16_e32 v0, 1, v39
	v_lshl_add_u64 v[96:97], v[88:89], 0, 27
	v_and_b32_e32 v0, 0xfe, v0
	v_lshlrev_b32_e32 v8, 3, v0
	v_mul_lo_u16_sdwa v0, v96, s2 dst_sel:DWORD dst_unused:UNUSED_PAD src0_sel:BYTE_0 src1_sel:DWORD
	v_lshrrev_b16_e32 v41, 11, v0
	v_mul_lo_u16_e32 v0, 10, v41
	v_sub_u16_e32 v43, v96, v0
	v_mov_b32_e32 v24, 4
	v_lshlrev_b32_sdwa v9, v24, v43 dst_sel:DWORD dst_unused:UNUSED_PAD src0_sel:DWORD src1_sel:BYTE_0
	global_load_dwordx4 v[4:7], v8, s[10:11]
	global_load_dwordx4 v[0:3], v9, s[10:11]
	v_mul_lo_u16_sdwa v8, v70, s2 dst_sel:DWORD dst_unused:UNUSED_PAD src0_sel:BYTE_0 src1_sel:DWORD
	v_lshrrev_b16_e32 v8, 11, v8
	v_mul_lo_u16_e32 v8, 10, v8
	v_sub_u16_e32 v113, v70, v8
	v_lshlrev_b16_e32 v8, 1, v113
	v_and_b32_e32 v8, 0xfe, v8
	v_lshlrev_b32_e32 v8, 3, v8
	global_load_dwordx4 v[8:11], v8, s[10:11]
	v_lshl_add_u64 v[98:99], v[88:89], 0, 54
	v_mul_lo_u16_sdwa v25, v98, s2 dst_sel:DWORD dst_unused:UNUSED_PAD src0_sel:BYTE_0 src1_sel:DWORD
	v_lshrrev_b16_e32 v56, 11, v25
	v_mul_lo_u16_e32 v25, 10, v56
	v_sub_u16_e32 v57, v98, v25
	v_lshlrev_b32_sdwa v24, v24, v57 dst_sel:DWORD dst_unused:UNUSED_PAD src0_sel:DWORD src1_sel:BYTE_0
	global_load_dwordx4 v[24:27], v24, s[10:11]
	v_mul_lo_u16_e32 v41, 30, v41
	v_and_b32_e32 v41, 0xfe, v41
	v_mad_legacy_u16 v19, v19, 30, v39
	v_add_u32_sdwa v39, v41, v43 dst_sel:DWORD dst_unused:UNUSED_PAD src0_sel:DWORD src1_sel:BYTE_0
	v_and_b32_e32 v19, 0xff, v19
	v_lshl_add_u32 v115, v39, 3, v112
	v_lshl_add_u32 v116, v19, 3, v112
	s_mov_b32 s2, 0x3f5db3d7
	s_waitcnt lgkmcnt(0)
	s_barrier
	s_waitcnt vmcnt(3)
	v_pk_mul_f32 v[44:45], v[14:15], v[4:5] op_sel:[0,1]
	v_mov_b32_e32 v46, v7
	s_waitcnt vmcnt(2)
	v_mov_b32_e32 v48, v3
	v_pk_mul_f32 v[50:51], v[20:21], v[0:1] op_sel:[0,1]
	v_pk_mul_f32 v[46:47], v[32:33], v[46:47] op_sel_hi:[1,0]
	v_pk_mul_f32 v[48:49], v[34:35], v[48:49] op_sel_hi:[1,0]
	v_pk_fma_f32 v[52:53], v[14:15], v[4:5], v[44:45] op_sel:[0,0,1] op_sel_hi:[1,1,0] neg_lo:[0,0,1] neg_hi:[0,0,1]
	v_pk_fma_f32 v[14:15], v[14:15], v[4:5], v[44:45] op_sel:[0,0,1] op_sel_hi:[1,0,0]
	v_pk_fma_f32 v[44:45], v[20:21], v[0:1], v[50:51] op_sel:[0,0,1] op_sel_hi:[1,1,0] neg_lo:[0,0,1] neg_hi:[0,0,1]
	s_waitcnt vmcnt(1)
	v_pk_mul_f32 v[40:41], v[40:41], v[8:9] op_sel_hi:[0,1]
	v_pk_mul_f32 v[42:43], v[42:43], v[10:11] op_sel_hi:[0,1]
	v_pk_fma_f32 v[20:21], v[20:21], v[0:1], v[50:51] op_sel:[0,0,1] op_sel_hi:[1,0,0]
	v_pk_fma_f32 v[50:51], v[18:19], v[8:9], v[40:41] op_sel:[0,0,1] op_sel_hi:[1,1,0] neg_lo:[0,0,1] neg_hi:[0,0,1]
	v_pk_fma_f32 v[18:19], v[18:19], v[8:9], v[40:41] op_sel:[0,0,1] op_sel_hi:[0,1,0]
	v_pk_fma_f32 v[40:41], v[32:33], v[6:7], v[46:47] op_sel:[0,0,1] op_sel_hi:[1,1,0] neg_lo:[0,0,1] neg_hi:[0,0,1]
	;; [unrolled: 2-line block ×4, first 2 shown]
	v_pk_fma_f32 v[38:39], v[38:39], v[10:11], v[42:43] op_sel:[0,0,1] op_sel_hi:[0,1,0]
	v_mov_b32_e32 v53, v15
	v_mov_b32_e32 v51, v19
	;; [unrolled: 1-line block ×4, first 2 shown]
	v_pk_add_f32 v[14:15], v[28:29], v[52:53]
	v_mov_b32_e32 v47, v35
	v_pk_add_f32 v[14:15], v[14:15], v[40:41]
	v_pk_add_f32 v[32:33], v[52:53], v[40:41]
	v_pk_add_f32 v[34:35], v[52:53], v[40:41] neg_lo:[0,1] neg_hi:[0,1]
	v_pk_add_f32 v[38:39], v[50:51], v[48:49]
	v_pk_add_f32 v[40:41], v[50:51], v[48:49] neg_lo:[0,1] neg_hi:[0,1]
	v_mov_b32_e32 v45, v21
	v_pk_add_f32 v[20:21], v[16:17], v[50:51]
	v_pk_fma_f32 v[16:17], v[38:39], 0.5, v[16:17] op_sel_hi:[1,0,1] neg_lo:[1,0,0] neg_hi:[1,0,0]
	v_pk_mul_f32 v[38:39], v[40:41], s[2:3] op_sel_hi:[1,0]
	v_pk_fma_f32 v[28:29], v[32:33], 0.5, v[28:29] op_sel_hi:[1,0,1] neg_lo:[1,0,0] neg_hi:[1,0,0]
	v_pk_mul_f32 v[32:33], v[34:35], s[2:3] op_sel_hi:[1,0]
	v_pk_add_f32 v[52:53], v[16:17], v[38:39] op_sel:[0,1] op_sel_hi:[1,0] neg_lo:[0,1] neg_hi:[0,1]
	v_pk_add_f32 v[54:55], v[38:39], v[16:17] op_sel:[1,0] op_sel_hi:[0,1]
	v_pk_add_f32 v[16:17], v[28:29], v[32:33] op_sel:[0,1] op_sel_hi:[1,0]
	v_pk_add_f32 v[28:29], v[28:29], v[32:33] op_sel:[0,1] op_sel_hi:[1,0] neg_lo:[0,1] neg_hi:[0,1]
	v_mov_b32_e32 v32, v16
	v_mov_b32_e32 v33, v29
	v_pk_add_f32 v[42:43], v[44:45], v[46:47]
	v_mov_b32_e32 v29, v17
	ds_write2_b64 v116, v[14:15], v[32:33] offset1:10
	ds_write_b64 v116, v[28:29] offset:160
	v_pk_add_f32 v[14:15], v[44:45], v[46:47] neg_lo:[0,1] neg_hi:[0,1]
	v_pk_add_f32 v[18:19], v[30:31], v[44:45]
	v_pk_fma_f32 v[30:31], v[42:43], 0.5, v[30:31] op_sel_hi:[1,0,1] neg_lo:[1,0,0] neg_hi:[1,0,0]
	v_pk_mul_f32 v[14:15], v[14:15], s[2:3] op_sel_hi:[1,0]
	v_pk_add_f32 v[18:19], v[18:19], v[46:47]
	v_pk_add_f32 v[16:17], v[30:31], v[14:15] op_sel:[0,1] op_sel_hi:[1,0]
	v_pk_add_f32 v[14:15], v[30:31], v[14:15] op_sel:[0,1] op_sel_hi:[1,0] neg_lo:[0,1] neg_hi:[0,1]
	v_mov_b32_e32 v28, v16
	v_mov_b32_e32 v29, v15
	v_mov_b32_e32 v15, v17
	ds_write_b64 v115, v[14:15] offset:160
	v_mul_u32_u24_e32 v14, 30, v56
	v_add_u32_sdwa v14, v14, v57 dst_sel:DWORD dst_unused:UNUSED_PAD src0_sel:DWORD src1_sel:BYTE_0
	v_lshl_add_u32 v117, v14, 3, v112
	s_waitcnt vmcnt(0)
	v_pk_mul_f32 v[14:15], v[22:23], v[24:25] op_sel:[0,1]
	ds_write2_b64 v115, v[18:19], v[28:29] offset1:10
	v_pk_fma_f32 v[16:17], v[22:23], v[24:25], v[14:15] op_sel:[0,0,1] op_sel_hi:[1,1,0] neg_lo:[0,0,1] neg_hi:[0,0,1]
	v_pk_fma_f32 v[14:15], v[22:23], v[24:25], v[14:15] op_sel:[0,0,1] op_sel_hi:[1,0,0]
	v_pk_add_f32 v[20:21], v[20:21], v[48:49]
	v_mov_b32_e32 v14, v27
	v_mov_b32_e32 v17, v15
	v_pk_mul_f32 v[14:15], v[36:37], v[14:15] op_sel_hi:[1,0]
	s_nop 0
	v_pk_fma_f32 v[18:19], v[36:37], v[26:27], v[14:15] op_sel:[0,0,1] op_sel_hi:[1,1,0] neg_lo:[0,0,1] neg_hi:[0,0,1]
	v_pk_fma_f32 v[14:15], v[36:37], v[26:27], v[14:15] op_sel:[0,0,1] op_sel_hi:[1,0,0]
	s_nop 0
	v_mov_b32_e32 v19, v15
	v_pk_add_f32 v[14:15], v[12:13], v[16:17]
	v_pk_add_f32 v[22:23], v[16:17], v[18:19]
	v_pk_add_f32 v[16:17], v[16:17], v[18:19] neg_lo:[0,1] neg_hi:[0,1]
	v_pk_fma_f32 v[12:13], v[22:23], 0.5, v[12:13] op_sel_hi:[1,0,1] neg_lo:[1,0,0] neg_hi:[1,0,0]
	v_pk_mul_f32 v[16:17], v[16:17], s[2:3] op_sel_hi:[1,0]
	v_pk_add_f32 v[14:15], v[14:15], v[18:19]
	v_pk_add_f32 v[18:19], v[12:13], v[16:17] op_sel:[0,1] op_sel_hi:[1,0]
	v_pk_add_f32 v[12:13], v[12:13], v[16:17] op_sel:[0,1] op_sel_hi:[1,0] neg_lo:[0,1] neg_hi:[0,1]
	v_mov_b32_e32 v16, v18
	v_mov_b32_e32 v17, v13
	;; [unrolled: 1-line block ×3, first 2 shown]
	ds_write2_b64 v117, v[14:15], v[16:17] offset1:10
	ds_write_b64 v117, v[12:13] offset:160
	s_and_saveexec_b64 s[2:3], vcc
	s_cbranch_execz .LBB0_5
; %bb.4:
	v_and_b32_e32 v12, 0xff, v113
	v_lshl_add_u32 v14, v12, 3, v112
	v_mov_b32_e32 v12, v54
	v_mov_b32_e32 v13, v53
	ds_write2_b64 v14, v[20:21], v[12:13] offset0:240 offset1:250
	v_mov_b32_e32 v12, v52
	v_mov_b32_e32 v13, v55
	ds_write_b64 v14, v[12:13] offset:2080
.LBB0_5:
	s_or_b64 exec, exec, s[2:3]
	s_waitcnt lgkmcnt(0)
	s_barrier
	ds_read2_b64 v[44:47], v87 offset1:27
	ds_read2_b64 v[36:39], v87 offset0:54 offset1:90
	ds_read2_b64 v[48:51], v87 offset0:180 offset1:207
	;; [unrolled: 1-line block ×3, first 2 shown]
	ds_read_b64 v[56:57], v87 offset:1872
	s_and_saveexec_b64 s[2:3], s[0:1]
	s_xor_b64 s[2:3], exec, s[2:3]
	s_andn2_saveexec_b64 s[2:3], s[2:3]
	s_cbranch_execz .LBB0_7
; %bb.6:
	ds_read2_b64 v[20:23], v87 offset0:81 offset1:171
	ds_read_b64 v[52:53], v87 offset:2088
	s_waitcnt lgkmcnt(1)
	v_mov_b32_e32 v54, v22
	s_waitcnt lgkmcnt(0)
	v_mov_b32_e32 v55, v53
	v_mov_b32_e32 v53, v23
.LBB0_7:
	s_or_b64 exec, exec, s[2:3]
	v_lshl_add_u64 v[16:17], v[88:89], 0, -3
	v_cmp_gt_u16_e64 s[2:3], 3, v88
	v_lshlrev_b32_e32 v22, 4, v88
	global_load_dwordx4 v[12:15], v22, s[10:11] offset:160
	v_cndmask_b32_e64 v61, v17, v97, s[2:3]
	v_cndmask_b32_e64 v60, v16, v96, s[2:3]
	s_movk_i32 s2, 0x89
	v_mul_lo_u16_sdwa v23, v70, s2 dst_sel:DWORD dst_unused:UNUSED_PAD src0_sel:BYTE_0 src1_sel:DWORD
	v_lshrrev_b16_e32 v23, 12, v23
	v_lshl_add_u64 v[16:17], v[60:61], 4, s[10:11]
	v_mul_lo_u16_e32 v23, 30, v23
	global_load_dwordx4 v[16:19], v[16:17], off offset:160
	v_sub_u16_e32 v114, v70, v23
	v_and_b32_e32 v58, 0xff, v114
	v_lshlrev_b32_e32 v23, 4, v58
	global_load_dwordx4 v[28:31], v23, s[10:11] offset:160
	v_mul_lo_u16_sdwa v32, v98, s2 dst_sel:DWORD dst_unused:UNUSED_PAD src0_sel:BYTE_0 src1_sel:DWORD
	v_lshrrev_b16_e32 v59, 12, v32
	v_mul_lo_u16_e32 v32, 30, v59
	v_mov_b32_e32 v23, 4
	v_sub_u16_e32 v104, v98, v32
	v_lshlrev_b32_sdwa v23, v23, v104 dst_sel:DWORD dst_unused:UNUSED_PAD src0_sel:DWORD src1_sel:BYTE_0
	global_load_dwordx4 v[32:35], v23, s[10:11] offset:160
	v_mov_b32_e32 v61, 0x5a
	v_cmp_lt_u16_e64 s[2:3], 2, v88
	s_mov_b32 s14, 0x3f5db3d7
	s_waitcnt lgkmcnt(0)
	v_cndmask_b32_e64 v61, 0, v61, s[2:3]
	v_add_u32_e32 v60, v60, v61
	v_lshl_add_u32 v118, v60, 3, v112
	s_barrier
	v_mov_b32_e32 v23, 0
	s_waitcnt vmcnt(3)
	v_pk_mul_f32 v[60:61], v[38:39], v[12:13] op_sel:[0,1]
	v_mov_b32_e32 v62, v15
	v_pk_fma_f32 v[64:65], v[38:39], v[12:13], v[60:61] op_sel:[0,0,1] op_sel_hi:[1,1,0] neg_lo:[0,0,1] neg_hi:[0,0,1]
	v_pk_fma_f32 v[38:39], v[38:39], v[12:13], v[60:61] op_sel:[0,0,1] op_sel_hi:[1,0,0]
	v_pk_mul_f32 v[60:61], v[48:49], v[62:63] op_sel_hi:[1,0]
	v_mov_b32_e32 v65, v39
	v_pk_fma_f32 v[38:39], v[48:49], v[14:15], v[60:61] op_sel:[0,0,1] op_sel_hi:[1,1,0] neg_lo:[0,0,1] neg_hi:[0,0,1]
	v_pk_fma_f32 v[48:49], v[48:49], v[14:15], v[60:61] op_sel:[0,0,1] op_sel_hi:[1,0,0]
	s_waitcnt vmcnt(2)
	v_pk_mul_f32 v[60:61], v[40:41], v[16:17] op_sel:[0,1]
	v_mov_b32_e32 v48, v19
	v_mov_b32_e32 v39, v49
	v_pk_fma_f32 v[66:67], v[40:41], v[16:17], v[60:61] op_sel:[0,0,1] op_sel_hi:[1,1,0] neg_lo:[0,0,1] neg_hi:[0,0,1]
	v_pk_fma_f32 v[40:41], v[40:41], v[16:17], v[60:61] op_sel:[0,0,1] op_sel_hi:[1,0,0]
	v_pk_mul_f32 v[48:49], v[50:51], v[48:49] op_sel_hi:[1,0]
	v_pk_add_f32 v[62:63], v[44:45], v[64:65]
	v_pk_add_f32 v[60:61], v[64:65], v[38:39]
	v_pk_add_f32 v[64:65], v[64:65], v[38:39] neg_lo:[0,1] neg_hi:[0,1]
	v_mov_b32_e32 v67, v41
	v_pk_fma_f32 v[40:41], v[50:51], v[18:19], v[48:49] op_sel:[0,0,1] op_sel_hi:[1,1,0] neg_lo:[0,0,1] neg_hi:[0,0,1]
	v_pk_fma_f32 v[48:49], v[50:51], v[18:19], v[48:49] op_sel:[0,0,1] op_sel_hi:[1,0,0]
	v_pk_add_f32 v[38:39], v[62:63], v[38:39]
	v_pk_fma_f32 v[44:45], v[60:61], 0.5, v[44:45] op_sel_hi:[1,0,1] neg_lo:[1,0,0] neg_hi:[1,0,0]
	v_pk_mul_f32 v[50:51], v[64:65], s[14:15] op_sel_hi:[1,0]
	v_mov_b32_e32 v41, v49
	v_pk_add_f32 v[48:49], v[46:47], v[66:67]
	s_waitcnt vmcnt(1)
	v_pk_mul_f32 v[60:61], v[52:53], v[28:29] op_sel:[1,0]
	v_pk_mul_f32 v[62:63], v[54:55], v[30:31] op_sel:[1,0]
	v_pk_add_f32 v[64:65], v[44:45], v[50:51] op_sel:[0,1] op_sel_hi:[1,0] neg_lo:[0,1] neg_hi:[0,1]
	v_pk_add_f32 v[44:45], v[44:45], v[50:51] op_sel:[0,1] op_sel_hi:[1,0]
	v_pk_add_f32 v[50:51], v[48:49], v[40:41]
	v_pk_add_f32 v[48:49], v[66:67], v[40:41]
	v_pk_add_f32 v[40:41], v[66:67], v[40:41] neg_lo:[0,1] neg_hi:[0,1]
	v_pk_fma_f32 v[66:67], v[54:55], v[28:29], v[60:61] op_sel:[0,0,1] op_sel_hi:[1,1,0] neg_lo:[0,0,1] neg_hi:[0,0,1]
	v_pk_fma_f32 v[54:55], v[54:55], v[28:29], v[60:61] op_sel:[0,0,1] op_sel_hi:[0,1,0]
	v_pk_fma_f32 v[60:61], v[52:53], v[30:31], v[62:63] op_sel:[0,0,1] op_sel_hi:[1,1,0] neg_lo:[0,0,1] neg_hi:[0,0,1]
	v_pk_fma_f32 v[52:53], v[52:53], v[30:31], v[62:63] op_sel:[0,0,1] op_sel_hi:[0,1,0]
	v_mov_b32_e32 v62, v44
	v_mov_b32_e32 v63, v65
	v_mov_b32_e32 v65, v45
	v_pk_fma_f32 v[44:45], v[48:49], 0.5, v[46:47] op_sel_hi:[1,0,1] neg_lo:[1,0,0] neg_hi:[1,0,0]
	v_pk_mul_f32 v[40:41], v[40:41], s[14:15] op_sel_hi:[1,0]
	v_mov_b32_e32 v67, v55
	v_mov_b32_e32 v61, v53
	ds_write2_b64 v87, v[38:39], v[62:63] offset1:30
	ds_write_b64 v87, v[64:65] offset:480
	v_pk_add_f32 v[38:39], v[44:45], v[40:41] op_sel:[0,1] op_sel_hi:[1,0]
	v_pk_add_f32 v[40:41], v[44:45], v[40:41] op_sel:[0,1] op_sel_hi:[1,0] neg_lo:[0,1] neg_hi:[0,1]
	v_pk_add_f32 v[46:47], v[66:67], v[60:61]
	v_pk_add_f32 v[52:53], v[66:67], v[60:61] neg_lo:[0,1] neg_hi:[0,1]
	v_pk_add_f32 v[44:45], v[20:21], v[66:67]
	v_mov_b32_e32 v54, v38
	v_mov_b32_e32 v55, v41
	;; [unrolled: 1-line block ×3, first 2 shown]
	v_pk_fma_f32 v[20:21], v[46:47], 0.5, v[20:21] op_sel_hi:[1,0,1] neg_lo:[1,0,0] neg_hi:[1,0,0]
	v_pk_mul_f32 v[38:39], v[52:53], s[14:15] op_sel_hi:[1,0]
	ds_write2_b64 v118, v[50:51], v[54:55] offset1:30
	ds_write_b64 v118, v[40:41] offset:480
	v_pk_add_f32 v[102:103], v[20:21], v[38:39] op_sel:[0,1] op_sel_hi:[1,0] neg_lo:[0,1] neg_hi:[0,1]
	v_pk_add_f32 v[100:101], v[38:39], v[20:21] op_sel:[1,0] op_sel_hi:[0,1]
	v_mul_u32_u24_e32 v20, 0x5a, v59
	v_add_u32_sdwa v20, v20, v104 dst_sel:DWORD dst_unused:UNUSED_PAD src0_sel:DWORD src1_sel:BYTE_0
	v_lshl_add_u32 v119, v20, 3, v112
	s_waitcnt vmcnt(0)
	v_pk_mul_f32 v[20:21], v[42:43], v[32:33] op_sel:[0,1]
	v_pk_add_f32 v[48:49], v[44:45], v[60:61]
	v_pk_fma_f32 v[38:39], v[42:43], v[32:33], v[20:21] op_sel:[0,0,1] op_sel_hi:[1,1,0] neg_lo:[0,0,1] neg_hi:[0,0,1]
	v_pk_fma_f32 v[20:21], v[42:43], v[32:33], v[20:21] op_sel:[0,0,1] op_sel_hi:[1,0,0]
	s_nop 0
	v_mov_b32_e32 v20, v35
	v_mov_b32_e32 v39, v21
	v_pk_mul_f32 v[20:21], v[56:57], v[20:21] op_sel_hi:[1,0]
	s_nop 0
	v_pk_fma_f32 v[40:41], v[56:57], v[34:35], v[20:21] op_sel:[0,0,1] op_sel_hi:[1,1,0] neg_lo:[0,0,1] neg_hi:[0,0,1]
	v_pk_fma_f32 v[20:21], v[56:57], v[34:35], v[20:21] op_sel:[0,0,1] op_sel_hi:[1,0,0]
	s_nop 0
	v_mov_b32_e32 v41, v21
	v_pk_add_f32 v[20:21], v[36:37], v[38:39]
	v_pk_add_f32 v[42:43], v[38:39], v[40:41]
	v_pk_add_f32 v[38:39], v[38:39], v[40:41] neg_lo:[0,1] neg_hi:[0,1]
	v_pk_fma_f32 v[36:37], v[42:43], 0.5, v[36:37] op_sel_hi:[1,0,1] neg_lo:[1,0,0] neg_hi:[1,0,0]
	v_pk_mul_f32 v[38:39], v[38:39], s[14:15] op_sel_hi:[1,0]
	v_pk_add_f32 v[20:21], v[20:21], v[40:41]
	v_pk_add_f32 v[40:41], v[36:37], v[38:39] op_sel:[0,1] op_sel_hi:[1,0]
	v_pk_add_f32 v[36:37], v[36:37], v[38:39] op_sel:[0,1] op_sel_hi:[1,0] neg_lo:[0,1] neg_hi:[0,1]
	v_mov_b32_e32 v38, v40
	v_mov_b32_e32 v39, v37
	;; [unrolled: 1-line block ×3, first 2 shown]
	ds_write2_b64 v119, v[20:21], v[38:39] offset1:30
	ds_write_b64 v119, v[36:37] offset:480
	s_and_saveexec_b64 s[2:3], vcc
	s_cbranch_execz .LBB0_9
; %bb.8:
	v_lshl_add_u32 v36, v58, 3, v112
	v_mov_b32_e32 v20, v100
	v_mov_b32_e32 v21, v103
	ds_write2_b64 v36, v[48:49], v[20:21] offset0:180 offset1:210
	v_mov_b32_e32 v20, v102
	v_mov_b32_e32 v21, v101
	ds_write_b64 v36, v[20:21] offset:1920
.LBB0_9:
	s_or_b64 exec, exec, s[2:3]
	s_waitcnt lgkmcnt(0)
	s_barrier
	ds_read2_b64 v[56:59], v87 offset1:27
	ds_read2_b64 v[52:55], v87 offset0:54 offset1:90
	ds_read2_b64 v[60:63], v87 offset0:180 offset1:207
	;; [unrolled: 1-line block ×3, first 2 shown]
	ds_read_b64 v[104:105], v87 offset:1872
	s_and_saveexec_b64 s[2:3], s[0:1]
	s_xor_b64 s[2:3], exec, s[2:3]
	s_or_saveexec_b64 s[2:3], s[2:3]
	v_lshl_add_u64 v[20:21], s[10:11], 0, v[22:23]
	s_xor_b64 exec, exec, s[2:3]
	s_cbranch_execz .LBB0_11
; %bb.10:
	ds_read2_b64 v[48:51], v87 offset0:81 offset1:171
	ds_read_b64 v[102:103], v87 offset:2088
	s_waitcnt lgkmcnt(1)
	v_mov_b32_e32 v100, v50
	s_waitcnt lgkmcnt(0)
	v_mov_b32_e32 v101, v103
	v_mov_b32_e32 v103, v51
.LBB0_11:
	s_or_b64 exec, exec, s[2:3]
	global_load_dwordx4 v[36:39], v[20:21], off offset:640
	v_lshl_add_u64 v[20:21], v[96:97], 4, s[10:11]
	global_load_dwordx4 v[40:43], v[20:21], off offset:640
	v_lshl_add_u64 v[20:21], v[98:99], 4, s[10:11]
	global_load_dwordx4 v[44:47], v[20:21], off offset:640
	v_lshl_add_u64 v[20:21], v[88:89], 0, -9
	v_cndmask_b32_e32 v21, v21, v71, vcc
	v_cndmask_b32_e32 v20, v20, v70, vcc
	v_lshl_add_u64 v[20:21], v[20:21], 4, s[10:11]
	global_load_dwordx4 v[20:23], v[20:21], off offset:640
	s_mov_b32 s2, 0x3f5db3d7
	v_lshl_add_u32 v89, v88, 3, v112
	v_lshl_add_u64 v[68:69], s[8:9], 0, v[68:69]
	s_waitcnt vmcnt(3) lgkmcnt(3)
	v_pk_mul_f32 v[50:51], v[54:55], v[36:37] op_sel:[0,1]
	v_mov_b32_e32 v70, v39
	v_pk_fma_f32 v[96:97], v[54:55], v[36:37], v[50:51] op_sel:[0,0,1] op_sel_hi:[1,1,0] neg_lo:[0,0,1] neg_hi:[0,0,1]
	v_pk_fma_f32 v[50:51], v[54:55], v[36:37], v[50:51] op_sel:[0,0,1] op_sel_hi:[1,0,0]
	s_waitcnt lgkmcnt(2)
	v_pk_mul_f32 v[54:55], v[60:61], v[70:71] op_sel_hi:[1,0]
	s_waitcnt vmcnt(2) lgkmcnt(1)
	v_pk_mul_f32 v[70:71], v[64:65], v[40:41] op_sel:[0,1]
	v_mov_b32_e32 v50, v43
	s_waitcnt vmcnt(1)
	v_pk_mul_f32 v[98:99], v[66:67], v[44:45] op_sel:[0,1]
	v_mov_b32_e32 v108, v47
	v_mov_b32_e32 v97, v51
	v_pk_fma_f32 v[110:111], v[60:61], v[38:39], v[54:55] op_sel:[0,0,1] op_sel_hi:[1,1,0] neg_lo:[0,0,1] neg_hi:[0,0,1]
	v_pk_fma_f32 v[54:55], v[60:61], v[38:39], v[54:55] op_sel:[0,0,1] op_sel_hi:[1,0,0]
	v_pk_fma_f32 v[120:121], v[64:65], v[40:41], v[70:71] op_sel:[0,0,1] op_sel_hi:[1,1,0] neg_lo:[0,0,1] neg_hi:[0,0,1]
	v_pk_fma_f32 v[60:61], v[64:65], v[40:41], v[70:71] op_sel:[0,0,1] op_sel_hi:[1,0,0]
	v_pk_mul_f32 v[50:51], v[62:63], v[50:51] op_sel_hi:[1,0]
	v_pk_fma_f32 v[64:65], v[66:67], v[44:45], v[98:99] op_sel:[0,0,1] op_sel_hi:[1,1,0] neg_lo:[0,0,1] neg_hi:[0,0,1]
	v_pk_fma_f32 v[66:67], v[66:67], v[44:45], v[98:99] op_sel:[0,0,1] op_sel_hi:[1,0,0]
	s_waitcnt lgkmcnt(0)
	v_pk_mul_f32 v[70:71], v[104:105], v[108:109] op_sel_hi:[1,0]
	s_waitcnt vmcnt(0)
	v_pk_mul_f32 v[98:99], v[100:101], v[20:21] op_sel_hi:[0,1]
	v_pk_mul_f32 v[108:109], v[102:103], v[22:23] op_sel_hi:[0,1]
	v_mov_b32_e32 v111, v55
	v_mov_b32_e32 v121, v61
	v_pk_fma_f32 v[122:123], v[62:63], v[42:43], v[50:51] op_sel:[0,0,1] op_sel_hi:[1,1,0] neg_lo:[0,0,1] neg_hi:[0,0,1]
	v_pk_fma_f32 v[50:51], v[62:63], v[42:43], v[50:51] op_sel:[0,0,1] op_sel_hi:[1,0,0]
	v_pk_add_f32 v[54:55], v[56:57], v[96:97]
	v_mov_b32_e32 v65, v67
	v_pk_fma_f32 v[62:63], v[104:105], v[46:47], v[70:71] op_sel:[0,0,1] op_sel_hi:[1,1,0] neg_lo:[0,0,1] neg_hi:[0,0,1]
	v_pk_fma_f32 v[60:61], v[104:105], v[46:47], v[70:71] op_sel:[0,0,1] op_sel_hi:[1,0,0]
	v_pk_fma_f32 v[66:67], v[102:103], v[20:21], v[98:99] op_sel:[1,0,1] op_sel_hi:[1,1,0]
	v_pk_fma_f32 v[70:71], v[102:103], v[20:21], v[98:99] op_sel:[1,0,1] op_sel_hi:[1,1,0] neg_lo:[1,0,0] neg_hi:[1,0,0]
	v_pk_fma_f32 v[98:99], v[100:101], v[22:23], v[108:109] op_sel:[1,0,1] op_sel_hi:[1,1,0]
	v_pk_fma_f32 v[100:101], v[100:101], v[22:23], v[108:109] op_sel:[1,0,1] op_sel_hi:[1,1,0] neg_lo:[1,0,0] neg_hi:[1,0,0]
	v_pk_add_f32 v[104:105], v[96:97], v[110:111]
	v_pk_add_f32 v[96:97], v[96:97], v[110:111] neg_lo:[0,1] neg_hi:[0,1]
	v_mov_b32_e32 v123, v51
	v_pk_add_f32 v[50:51], v[58:59], v[120:121]
	v_pk_add_f32 v[102:103], v[54:55], v[110:111]
	v_mov_b32_e32 v67, v71
	v_mov_b32_e32 v99, v101
	;; [unrolled: 1-line block ×4, first 2 shown]
	v_pk_fma_f32 v[56:57], v[104:105], 0.5, v[56:57] op_sel_hi:[1,0,1] neg_lo:[1,0,0] neg_hi:[1,0,0]
	v_pk_mul_f32 v[70:71], v[96:97], s[2:3] op_sel_hi:[1,0]
	v_pk_add_f32 v[100:101], v[50:51], v[122:123]
	v_pk_add_f32 v[50:51], v[120:121], v[122:123]
	v_pk_add_f32 v[96:97], v[120:121], v[122:123] neg_lo:[0,1] neg_hi:[0,1]
	v_mov_b32_e32 v63, v61
	v_mov_b32_e32 v55, v66
	;; [unrolled: 1-line block ×3, first 2 shown]
	v_pk_add_f32 v[66:67], v[66:67], v[98:99] neg_lo:[0,1] neg_hi:[0,1]
	v_pk_add_f32 v[98:99], v[56:57], v[70:71] op_sel:[0,1] op_sel_hi:[1,0]
	v_pk_add_f32 v[56:57], v[56:57], v[70:71] op_sel:[0,1] op_sel_hi:[1,0] neg_lo:[0,1] neg_hi:[0,1]
	v_pk_fma_f32 v[50:51], v[50:51], 0.5, v[58:59] op_sel_hi:[1,0,1] neg_lo:[1,0,0] neg_hi:[1,0,0]
	v_pk_mul_f32 v[58:59], v[96:97], s[2:3] op_sel_hi:[1,0]
	v_pk_add_f32 v[108:109], v[52:53], v[64:65]
	v_mov_b32_e32 v70, v98
	v_mov_b32_e32 v71, v57
	;; [unrolled: 1-line block ×3, first 2 shown]
	v_pk_add_f32 v[98:99], v[50:51], v[58:59] op_sel:[0,1] op_sel_hi:[1,0]
	v_pk_add_f32 v[58:59], v[50:51], v[58:59] op_sel:[0,1] op_sel_hi:[1,0] neg_lo:[0,1] neg_hi:[0,1]
	v_pk_add_f32 v[104:105], v[108:109], v[62:63]
	v_pk_add_f32 v[108:109], v[64:65], v[62:63]
	v_pk_add_f32 v[62:63], v[64:65], v[62:63] neg_lo:[0,1] neg_hi:[0,1]
	ds_write_b64 v89, v[70:71] offset:720
	ds_write_b64 v89, v[56:57] offset:1440
	ds_write2_b64 v87, v[102:103], v[100:101] offset1:27
	v_mov_b32_e32 v56, v98
	v_mov_b32_e32 v57, v59
	v_pk_add_f32 v[64:65], v[54:55], v[60:61]
	v_pk_fma_f32 v[52:53], v[108:109], 0.5, v[52:53] op_sel_hi:[1,0,1] neg_lo:[1,0,0] neg_hi:[1,0,0]
	v_mov_b32_e32 v59, v99
	ds_write_b64 v89, v[56:57] offset:936
	ds_write_b64 v89, v[58:59] offset:1656
	;; [unrolled: 1-line block ×3, first 2 shown]
	v_pk_mul_f32 v[56:57], v[62:63], s[2:3] op_sel_hi:[1,0]
	v_pk_fma_f32 v[64:65], v[64:65], 0.5, v[48:49] op_sel_hi:[1,0,1] neg_lo:[1,0,0] neg_hi:[1,0,0]
	v_pk_add_f32 v[58:59], v[52:53], v[56:57] op_sel:[0,1] op_sel_hi:[1,0]
	v_pk_add_f32 v[52:53], v[52:53], v[56:57] op_sel:[0,1] op_sel_hi:[1,0] neg_lo:[0,1] neg_hi:[0,1]
	v_pk_fma_f32 v[50:51], v[66:67], s[2:3], v[64:65] op_sel_hi:[1,0,1] neg_lo:[1,0,0] neg_hi:[1,0,0]
	v_pk_fma_f32 v[96:97], v[66:67], s[2:3], v[64:65] op_sel_hi:[1,0,1]
	v_mov_b32_e32 v56, v58
	v_mov_b32_e32 v57, v53
	;; [unrolled: 1-line block ×3, first 2 shown]
	ds_write2_b64 v87, v[56:57], v[52:53] offset0:144 offset1:234
	s_and_saveexec_b64 s[2:3], vcc
	s_cbranch_execz .LBB0_13
; %bb.12:
	v_pk_add_f32 v[48:49], v[48:49], v[54:55]
	v_mov_b32_e32 v52, v50
	v_pk_add_f32 v[48:49], v[48:49], v[60:61]
	ds_write_b64 v87, v[48:49] offset:648
	v_mov_b32_e32 v48, v96
	v_mov_b32_e32 v49, v51
	;; [unrolled: 1-line block ×3, first 2 shown]
	v_add_u32_e32 v54, 0x400, v89
	ds_write2_b64 v54, v[48:49], v[52:53] offset0:43 offset1:133
.LBB0_13:
	s_or_b64 exec, exec, s[2:3]
	s_waitcnt lgkmcnt(0)
	s_barrier
	global_load_dwordx2 v[48:49], v[68:69], off offset:2160
	s_add_u32 s2, s8, 0x870
	s_addc_u32 s3, s9, 0
	v_lshlrev_b32_e32 v52, 3, v88
	global_load_dwordx2 v[68:69], v52, s[2:3] offset:216
	global_load_dwordx2 v[70:71], v52, s[2:3] offset:432
	;; [unrolled: 1-line block ×9, first 2 shown]
	ds_read2_b64 v[52:55], v87 offset1:27
	ds_read2_b64 v[56:59], v87 offset0:54 offset1:108
	ds_read2_b64 v[60:63], v87 offset0:135 offset1:162
	;; [unrolled: 1-line block ×3, first 2 shown]
	ds_read_b64 v[122:123], v89 offset:648
	ds_read_b64 v[124:125], v87 offset:1944
	s_mov_b32 s2, 0x3f737871
	s_mov_b32 s10, 0x3f167918
	;; [unrolled: 1-line block ×5, first 2 shown]
	s_waitcnt vmcnt(5) lgkmcnt(4)
	v_mul_f32_e32 v128, v59, v101
	v_mul_f32_e32 v107, v53, v49
	;; [unrolled: 1-line block ×3, first 2 shown]
	v_fma_f32 v126, v52, v48, -v107
	v_fmac_f32_e32 v127, v53, v48
	v_mul_f32_e32 v48, v55, v69
	v_mul_f32_e32 v49, v54, v69
	;; [unrolled: 1-line block ×5, first 2 shown]
	s_waitcnt lgkmcnt(1)
	v_mul_f32_e32 v107, v123, v99
	v_mul_f32_e32 v69, v122, v99
	s_waitcnt vmcnt(4)
	v_mul_f32_e32 v129, v61, v103
	v_mul_f32_e32 v99, v60, v103
	s_waitcnt vmcnt(3)
	;; [unrolled: 3-line block ×4, first 2 shown]
	v_mul_f32_e32 v132, v67, v111
	v_mul_f32_e32 v105, v66, v111
	s_waitcnt vmcnt(0) lgkmcnt(0)
	v_mul_f32_e32 v111, v125, v121
	v_mul_f32_e32 v109, v124, v121
	v_fma_f32 v48, v54, v68, -v48
	v_fmac_f32_e32 v49, v55, v68
	v_fma_f32 v52, v56, v70, -v52
	v_fmac_f32_e32 v53, v57, v70
	v_fma_f32 v70, v58, v100, -v128
	v_fmac_f32_e32 v71, v59, v100
	v_fma_f32 v68, v122, v98, -v107
	v_fmac_f32_e32 v69, v123, v98
	v_fma_f32 v98, v60, v102, -v129
	v_fmac_f32_e32 v99, v61, v102
	v_fma_f32 v100, v62, v104, -v130
	v_fmac_f32_e32 v101, v63, v104
	v_fma_f32 v102, v64, v108, -v131
	v_fmac_f32_e32 v103, v65, v108
	v_fma_f32 v104, v66, v110, -v132
	v_fmac_f32_e32 v105, v67, v110
	v_fma_f32 v108, v124, v120, -v111
	v_fmac_f32_e32 v109, v125, v120
	ds_write2_b64 v87, v[126:127], v[48:49] offset1:27
	ds_write_b64 v89, v[68:69] offset:648
	ds_write2_b64 v87, v[52:53], v[70:71] offset0:54 offset1:108
	ds_write2_b64 v87, v[98:99], v[100:101] offset0:135 offset1:162
	;; [unrolled: 1-line block ×3, first 2 shown]
	ds_write_b64 v87, v[108:109] offset:1944
	s_waitcnt lgkmcnt(0)
	s_barrier
	ds_read2_b64 v[52:55], v87 offset1:27
	ds_read2_b64 v[56:59], v87 offset0:54 offset1:108
	ds_read_b64 v[48:49], v89 offset:648
	ds_read_b64 v[70:71], v87 offset:1944
	ds_read2_b64 v[60:63], v87 offset0:135 offset1:162
	ds_read2_b64 v[64:67], v87 offset0:189 offset1:216
	s_waitcnt lgkmcnt(4)
	v_pk_add_f32 v[68:69], v[52:53], v[56:57]
	s_waitcnt lgkmcnt(3)
	v_mov_b32_e32 v102, v48
	s_waitcnt lgkmcnt(2)
	v_pk_add_f32 v[98:99], v[48:49], v[70:71]
	s_waitcnt lgkmcnt(1)
	v_pk_add_f32 v[108:109], v[58:59], v[62:63]
	s_waitcnt lgkmcnt(0)
	v_pk_add_f32 v[110:111], v[56:57], v[66:67] neg_lo:[0,1] neg_hi:[0,1]
	v_pk_fma_f32 v[108:109], v[108:109], 0.5, v[52:53] op_sel_hi:[1,0,1] neg_lo:[1,0,0] neg_hi:[1,0,0]
	v_pk_mul_f32 v[120:121], v[110:111], s[2:3] op_sel_hi:[1,0]
	v_pk_add_f32 v[124:125], v[58:59], v[62:63] neg_lo:[0,1] neg_hi:[0,1]
	v_pk_add_f32 v[122:123], v[108:109], v[120:121] op_sel:[0,1] op_sel_hi:[1,0]
	v_pk_mul_f32 v[126:127], v[124:125], s[10:11] op_sel_hi:[1,0]
	v_pk_add_f32 v[108:109], v[108:109], v[120:121] op_sel:[0,1] op_sel_hi:[1,0] neg_lo:[0,1] neg_hi:[0,1]
	v_pk_add_f32 v[122:123], v[126:127], v[122:123] op_sel:[1,0] op_sel_hi:[0,1]
	v_pk_add_f32 v[108:109], v[108:109], v[126:127] op_sel:[0,1] op_sel_hi:[1,0] neg_lo:[0,1] neg_hi:[0,1]
	v_pk_add_f32 v[126:127], v[56:57], v[58:59] neg_lo:[0,1] neg_hi:[0,1]
	v_pk_add_f32 v[128:129], v[66:67], v[62:63] neg_lo:[0,1] neg_hi:[0,1]
	v_mov_b32_e32 v100, v60
	v_mov_b32_e32 v101, v64
	;; [unrolled: 1-line block ×3, first 2 shown]
	v_pk_add_f32 v[126:127], v[126:127], v[128:129]
	v_pk_add_f32 v[128:129], v[60:61], v[64:65]
	;; [unrolled: 1-line block ×4, first 2 shown]
	v_fma_f32 v107, -0.5, v98, v54
	v_pk_add_f32 v[100:101], v[100:101], v[102:103] neg_lo:[0,1] neg_hi:[0,1]
	v_fma_f32 v138, -0.5, v99, v55
	v_pk_fma_f32 v[54:55], v[128:129], 0.5, v[54:55] op_sel_hi:[1,0,1] neg_lo:[1,0,0] neg_hi:[1,0,0]
	v_pk_add_f32 v[128:129], v[48:49], v[70:71] neg_lo:[0,1] neg_hi:[0,1]
	v_pk_add_f32 v[68:69], v[68:69], v[62:63]
	v_mov_b32_e32 v98, v101
	v_pk_mul_f32 v[130:131], v[128:129], s[2:3] op_sel_hi:[1,0]
	v_pk_add_f32 v[134:135], v[60:61], v[64:65] neg_lo:[0,1] neg_hi:[0,1]
	v_pk_add_f32 v[102:103], v[104:105], v[60:61]
	v_pk_add_f32 v[104:105], v[68:69], v[66:67]
	;; [unrolled: 1-line block ×3, first 2 shown]
	v_mov_b32_e32 v68, v61
	v_mov_b32_e32 v69, v65
	;; [unrolled: 1-line block ×4, first 2 shown]
	v_pk_add_f32 v[132:133], v[54:55], v[130:131] op_sel:[0,1] op_sel_hi:[1,0]
	v_pk_mul_f32 v[136:137], v[134:135], s[10:11] op_sel_hi:[1,0]
	v_pk_add_f32 v[48:49], v[48:49], v[60:61] neg_lo:[0,1] neg_hi:[0,1]
	v_pk_add_f32 v[60:61], v[70:71], v[64:65] neg_lo:[0,1] neg_hi:[0,1]
	;; [unrolled: 1-line block ×3, first 2 shown]
	v_mov_b32_e32 v120, v108
	v_mov_b32_e32 v121, v123
	v_pk_add_f32 v[132:133], v[136:137], v[132:133] op_sel:[1,0] op_sel_hi:[0,1]
	v_pk_add_f32 v[48:49], v[48:49], v[60:61]
	v_pk_add_f32 v[102:103], v[102:103], v[64:65]
	v_mov_b32_e32 v98, v69
	v_pk_fma_f32 v[120:121], v[126:127], s[8:9], v[120:121] op_sel_hi:[1,0,1]
	v_pk_fma_f32 v[60:61], v[48:49], s[8:9], v[132:133] op_sel_hi:[1,0,1]
	v_mov_b32_e32 v101, v129
	s_mov_b32 s9, s10
	v_pk_add_f32 v[54:55], v[54:55], v[130:131] op_sel:[0,1] op_sel_hi:[1,0] neg_lo:[0,1] neg_hi:[0,1]
	v_pk_add_f32 v[102:103], v[102:103], v[70:71]
	v_pk_add_f32 v[98:99], v[68:69], v[98:99]
	v_fmamk_f32 v70, v135, 0x3f737871, v107
	v_pk_mul_f32 v[64:65], v[100:101], s[8:9]
	v_fmac_f32_e32 v107, 0xbf737871, v135
	v_pk_add_f32 v[54:55], v[54:55], v[136:137] op_sel:[0,1] op_sel_hi:[1,0] neg_lo:[0,1] neg_hi:[0,1]
	v_sub_f32_e32 v70, v70, v65
	v_add_f32_e32 v65, v65, v107
	v_mov_b32_e32 v132, v54
	v_mov_b32_e32 v99, v128
	v_add_f32_e32 v100, v64, v70
	v_add_f32_e32 v64, v64, v65
	v_pk_fma_f32 v[70:71], v[48:49], s[8:9], v[132:133] op_sel_hi:[1,0,1]
	v_pk_fma_f32 v[48:49], v[48:49], s[8:9], v[54:55] op_sel_hi:[1,0,1]
	v_fmamk_f32 v65, v134, 0xbf737871, v138
	v_pk_mul_f32 v[54:55], v[98:99], s[8:9]
	v_fmac_f32_e32 v138, 0x3f737871, v134
	v_add_f32_e32 v65, v55, v65
	v_sub_f32_e32 v55, v138, v55
	v_add_f32_e32 v98, v54, v65
	v_add_f32_e32 v108, v54, v55
	v_pk_mul_f32 v[54:55], v[70:71], s[10:11] op_sel_hi:[1,0]
	v_mov_b32_e32 v123, v109
	v_pk_fma_f32 v[128:129], v[70:71], s[14:15], v[54:55] op_sel:[0,0,1] op_sel_hi:[1,0,0] neg_lo:[0,0,1] neg_hi:[0,0,1]
	v_pk_fma_f32 v[54:55], v[70:71], s[14:15], v[54:55] op_sel:[0,0,1] op_sel_hi:[1,0,0]
	s_mov_b32 s14, 0xbf4f1bbd
	s_mov_b32 s17, s14
	;; [unrolled: 1-line block ×3, first 2 shown]
	v_pk_mul_f32 v[48:49], v[48:49], s[16:17] op_sel:[1,0]
	v_mov_b32_e32 v129, v55
	v_pk_fma_f32 v[48:49], v[60:61], s[14:15], v[48:49] op_sel_hi:[0,1,1]
	v_pk_add_f32 v[60:61], v[56:57], v[66:67]
	v_pk_add_f32 v[56:57], v[58:59], v[56:57] neg_lo:[0,1] neg_hi:[0,1]
	v_pk_add_f32 v[58:59], v[62:63], v[66:67] neg_lo:[0,1] neg_hi:[0,1]
	v_pk_fma_f32 v[52:53], v[60:61], 0.5, v[52:53] op_sel_hi:[1,0,1] neg_lo:[1,0,0] neg_hi:[1,0,0]
	v_pk_add_f32 v[58:59], v[56:57], v[58:59]
	v_pk_mul_f32 v[56:57], v[124:125], s[2:3] op_sel_hi:[1,0]
	v_pk_mul_f32 v[60:61], v[110:111], s[10:11] op_sel_hi:[1,0]
	v_pk_add_f32 v[62:63], v[52:53], v[56:57] op_sel:[0,1] op_sel_hi:[1,0]
	v_pk_add_f32 v[52:53], v[52:53], v[56:57] op_sel:[0,1] op_sel_hi:[1,0] neg_lo:[0,1] neg_hi:[0,1]
	s_mov_b32 s3, s8
	v_pk_add_f32 v[52:53], v[52:53], v[60:61] op_sel:[0,1] op_sel_hi:[1,0]
	v_pk_add_f32 v[60:61], v[62:63], v[60:61] op_sel:[0,1] op_sel_hi:[1,0] neg_lo:[0,1] neg_hi:[0,1]
	v_mov_b32_e32 v57, v53
	v_mov_b32_e32 v56, v60
	v_pk_add_f32 v[68:69], v[104:105], v[102:103]
	v_pk_add_f32 v[70:71], v[120:121], v[128:129]
	v_pk_fma_f32 v[122:123], v[126:127], s[8:9], v[122:123] op_sel_hi:[1,0,1]
	v_pk_fma_f32 v[62:63], v[58:59], s[8:9], v[56:57] op_sel_hi:[1,0,1]
	s_mov_b32 s9, s2
	v_pk_mul_f32 v[56:57], v[98:99], s[2:3] op_sel_hi:[0,1]
	s_barrier
	ds_write_b128 v106, v[68:71]
	v_pk_fma_f32 v[66:67], v[100:101], s[8:9], v[56:57] neg_lo:[0,0,1] neg_hi:[0,0,1]
	v_pk_fma_f32 v[56:57], v[100:101], s[8:9], v[56:57] op_sel_hi:[0,1,1]
	s_mov_b32 s10, 0xbe9e377a
	s_mov_b32 s11, s2
	v_pk_mul_f32 v[68:69], v[108:109], s[2:3] op_sel_hi:[0,1]
	v_mov_b32_e32 v53, v61
	v_mov_b32_e32 v67, v57
	v_pk_fma_f32 v[64:65], v[64:65], s[10:11], v[68:69] op_sel_hi:[0,1,1] neg_lo:[0,0,1] neg_hi:[0,0,1]
	v_pk_fma_f32 v[52:53], v[58:59], s[8:9], v[52:53] op_sel_hi:[1,0,1]
	v_pk_add_f32 v[56:57], v[62:63], v[66:67]
	v_pk_add_f32 v[58:59], v[52:53], v[64:65]
	ds_write_b128 v106, v[56:59] offset:16
	v_pk_add_f32 v[56:57], v[122:123], v[48:49]
	v_pk_add_f32 v[58:59], v[104:105], v[102:103] neg_lo:[0,1] neg_hi:[0,1]
	v_pk_add_f32 v[54:55], v[122:123], v[48:49] neg_lo:[0,1] neg_hi:[0,1]
	ds_write_b128 v106, v[56:59] offset:32
	v_pk_add_f32 v[56:57], v[120:121], v[128:129] neg_lo:[0,1] neg_hi:[0,1]
	v_pk_add_f32 v[58:59], v[62:63], v[66:67] neg_lo:[0,1] neg_hi:[0,1]
	;; [unrolled: 1-line block ×3, first 2 shown]
	ds_write_b128 v106, v[56:59] offset:48
	ds_write_b128 v106, v[52:55] offset:64
	s_waitcnt lgkmcnt(0)
	s_barrier
	ds_read2_b64 v[64:67], v87 offset1:27
	ds_read2_b64 v[56:59], v87 offset0:54 offset1:90
	ds_read2_b64 v[68:71], v87 offset0:180 offset1:207
	;; [unrolled: 1-line block ×3, first 2 shown]
	ds_read_b64 v[98:99], v87 offset:1872
	s_and_saveexec_b64 s[2:3], s[0:1]
	s_xor_b64 s[2:3], exec, s[2:3]
	s_or_saveexec_b64 s[2:3], s[2:3]
	v_mov_b32_e32 v110, v4
	v_mov_b32_e32 v111, v4
	;; [unrolled: 1-line block ×18, first 2 shown]
	s_xor_b64 exec, exec, s[2:3]
	s_cbranch_execz .LBB0_15
; %bb.14:
	v_add_u32_e32 v48, 0x400, v87
	ds_read2_b64 v[48:51], v48 offset0:43 offset1:133
	ds_read_b64 v[54:55], v89 offset:648
	s_waitcnt lgkmcnt(1)
	v_mov_b32_e32 v96, v48
	v_mov_b32_e32 v97, v51
	;; [unrolled: 1-line block ×3, first 2 shown]
.LBB0_15:
	s_or_b64 exec, exec, s[2:3]
	s_waitcnt lgkmcnt(1)
	v_pk_mul_f32 v[48:49], v[0:1], v[60:61]
	v_pk_mul_f32 v[0:1], v[8:9], v[50:51] op_sel:[0,1]
	v_pk_mul_f32 v[52:53], v[10:11], v[96:97] op_sel:[0,1]
	v_pk_fma_f32 v[120:121], v[8:9], v[96:97], v[0:1] op_sel:[0,0,1] op_sel_hi:[1,1,0]
	v_pk_fma_f32 v[0:1], v[8:9], v[96:97], v[0:1] op_sel:[0,0,1] op_sel_hi:[1,0,0] neg_lo:[1,0,0] neg_hi:[1,0,0]
	v_pk_fma_f32 v[8:9], v[10:11], v[50:51], v[52:53] op_sel:[0,0,1] op_sel_hi:[1,0,0] neg_lo:[1,0,0] neg_hi:[1,0,0]
	v_mov_b32_e32 v121, v1
	v_pk_fma_f32 v[0:1], v[10:11], v[50:51], v[52:53] op_sel:[0,0,1] op_sel_hi:[1,1,0]
	s_mov_b32 s2, 0x3f5db3d7
	v_mov_b32_e32 v1, v9
	s_waitcnt lgkmcnt(0)
	v_pk_add_f32 v[8:9], v[54:55], v[120:121]
	v_pk_mul_f32 v[4:5], v[4:5], v[58:59]
	v_pk_add_f32 v[52:53], v[8:9], v[0:1]
	v_pk_add_f32 v[8:9], v[120:121], v[0:1]
	v_pk_add_f32 v[0:1], v[120:121], v[0:1] neg_lo:[0,1] neg_hi:[0,1]
	v_pk_fma_f32 v[8:9], v[8:9], 0.5, v[54:55] op_sel_hi:[1,0,1] neg_lo:[1,0,0] neg_hi:[1,0,0]
	v_pk_mul_f32 v[0:1], v[0:1], s[2:3] op_sel_hi:[1,0]
	v_pk_mul_f32 v[6:7], v[6:7], v[68:69]
	v_pk_add_f32 v[54:55], v[0:1], v[8:9] op_sel:[1,0] op_sel_hi:[0,1]
	v_pk_add_f32 v[0:1], v[8:9], v[0:1] op_sel:[0,1] op_sel_hi:[1,0] neg_lo:[0,1] neg_hi:[0,1]
	v_pk_fma_f32 v[8:9], v[110:111], v[58:59], v[4:5] op_sel:[0,0,1] op_sel_hi:[1,1,0]
	v_pk_fma_f32 v[4:5], v[110:111], v[58:59], v[4:5] op_sel:[0,0,1] op_sel_hi:[1,1,0] neg_lo:[0,0,1] neg_hi:[0,0,1]
	v_pk_mul_f32 v[2:3], v[2:3], v[70:71]
	v_mov_b32_e32 v9, v5
	v_pk_fma_f32 v[4:5], v[108:109], v[68:69], v[6:7] op_sel:[0,0,1] op_sel_hi:[1,1,0]
	v_pk_fma_f32 v[6:7], v[108:109], v[68:69], v[6:7] op_sel:[0,0,1] op_sel_hi:[1,1,0] neg_lo:[0,0,1] neg_hi:[0,0,1]
	s_nop 0
	v_mov_b32_e32 v5, v7
	v_pk_add_f32 v[6:7], v[64:65], v[8:9]
	v_pk_add_f32 v[10:11], v[8:9], v[4:5]
	;; [unrolled: 1-line block ×3, first 2 shown]
	v_pk_add_f32 v[4:5], v[8:9], v[4:5] neg_lo:[0,1] neg_hi:[0,1]
	v_pk_fma_f32 v[10:11], v[10:11], 0.5, v[64:65] op_sel_hi:[1,0,1] neg_lo:[1,0,0] neg_hi:[1,0,0]
	v_pk_mul_f32 v[4:5], v[4:5], s[2:3] op_sel_hi:[1,0]
	s_barrier
	v_pk_add_f32 v[8:9], v[10:11], v[4:5] op_sel:[0,1] op_sel_hi:[1,0] neg_lo:[0,1] neg_hi:[0,1]
	v_pk_add_f32 v[4:5], v[10:11], v[4:5] op_sel:[0,1] op_sel_hi:[1,0]
	v_mov_b32_e32 v10, v8
	v_mov_b32_e32 v11, v5
	;; [unrolled: 1-line block ×3, first 2 shown]
	ds_write2_b64 v116, v[6:7], v[10:11] offset1:10
	ds_write_b64 v116, v[4:5] offset:160
	v_pk_fma_f32 v[4:5], v[106:107], v[60:61], v[48:49] op_sel:[0,0,1] op_sel_hi:[1,1,0]
	v_pk_fma_f32 v[6:7], v[106:107], v[60:61], v[48:49] op_sel:[0,0,1] op_sel_hi:[1,1,0] neg_lo:[0,0,1] neg_hi:[0,0,1]
	v_pk_mul_f32 v[24:25], v[24:25], v[62:63]
	v_mov_b32_e32 v5, v7
	v_pk_fma_f32 v[6:7], v[104:105], v[70:71], v[2:3] op_sel:[0,0,1] op_sel_hi:[1,1,0]
	v_pk_fma_f32 v[2:3], v[104:105], v[70:71], v[2:3] op_sel:[0,0,1] op_sel_hi:[1,1,0] neg_lo:[0,0,1] neg_hi:[0,0,1]
	v_pk_mul_f32 v[26:27], v[26:27], v[98:99]
	v_mov_b32_e32 v7, v3
	v_pk_add_f32 v[2:3], v[66:67], v[4:5]
	v_pk_add_f32 v[8:9], v[4:5], v[6:7]
	v_pk_add_f32 v[4:5], v[4:5], v[6:7] neg_lo:[0,1] neg_hi:[0,1]
	v_pk_fma_f32 v[8:9], v[8:9], 0.5, v[66:67] op_sel_hi:[1,0,1] neg_lo:[1,0,0] neg_hi:[1,0,0]
	v_pk_mul_f32 v[4:5], v[4:5], s[2:3] op_sel_hi:[1,0]
	v_pk_add_f32 v[2:3], v[2:3], v[6:7]
	v_pk_add_f32 v[6:7], v[8:9], v[4:5] op_sel:[0,1] op_sel_hi:[1,0] neg_lo:[0,1] neg_hi:[0,1]
	v_pk_add_f32 v[4:5], v[8:9], v[4:5] op_sel:[0,1] op_sel_hi:[1,0]
	v_mov_b32_e32 v8, v6
	v_mov_b32_e32 v9, v5
	;; [unrolled: 1-line block ×3, first 2 shown]
	ds_write2_b64 v115, v[2:3], v[8:9] offset1:10
	ds_write_b64 v115, v[4:5] offset:160
	v_pk_fma_f32 v[2:3], v[102:103], v[62:63], v[24:25] op_sel:[0,0,1] op_sel_hi:[1,1,0]
	v_pk_fma_f32 v[4:5], v[102:103], v[62:63], v[24:25] op_sel:[0,0,1] op_sel_hi:[1,1,0] neg_lo:[0,0,1] neg_hi:[0,0,1]
	v_pk_fma_f32 v[6:7], v[100:101], v[98:99], v[26:27] op_sel:[0,0,1] op_sel_hi:[1,1,0] neg_lo:[0,0,1] neg_hi:[0,0,1]
	v_mov_b32_e32 v3, v5
	v_pk_fma_f32 v[4:5], v[100:101], v[98:99], v[26:27] op_sel:[0,0,1] op_sel_hi:[1,1,0]
	s_nop 0
	v_mov_b32_e32 v5, v7
	v_pk_add_f32 v[6:7], v[56:57], v[2:3]
	v_pk_add_f32 v[8:9], v[2:3], v[4:5]
	v_pk_add_f32 v[2:3], v[2:3], v[4:5] neg_lo:[0,1] neg_hi:[0,1]
	v_pk_fma_f32 v[8:9], v[8:9], 0.5, v[56:57] op_sel_hi:[1,0,1] neg_lo:[1,0,0] neg_hi:[1,0,0]
	v_pk_mul_f32 v[2:3], v[2:3], s[2:3] op_sel_hi:[1,0]
	v_pk_add_f32 v[6:7], v[6:7], v[4:5]
	v_pk_add_f32 v[4:5], v[8:9], v[2:3] op_sel:[0,1] op_sel_hi:[1,0] neg_lo:[0,1] neg_hi:[0,1]
	v_pk_add_f32 v[2:3], v[8:9], v[2:3] op_sel:[0,1] op_sel_hi:[1,0]
	v_mov_b32_e32 v8, v4
	v_mov_b32_e32 v9, v3
	v_mov_b32_e32 v3, v5
	ds_write2_b64 v117, v[6:7], v[8:9] offset1:10
	ds_write_b64 v117, v[2:3] offset:160
	s_and_saveexec_b64 s[2:3], vcc
	s_cbranch_execz .LBB0_17
; %bb.16:
	v_and_b32_e32 v2, 0xff, v113
	v_lshl_add_u32 v4, v2, 3, v112
	v_mov_b32_e32 v2, v0
	v_mov_b32_e32 v3, v55
	ds_write2_b64 v4, v[52:53], v[2:3] offset0:240 offset1:250
	v_mov_b32_e32 v2, v54
	v_mov_b32_e32 v3, v1
	ds_write_b64 v4, v[2:3] offset:2080
.LBB0_17:
	s_or_b64 exec, exec, s[2:3]
	s_waitcnt lgkmcnt(0)
	s_barrier
	ds_read2_b64 v[24:27], v87 offset1:27
	ds_read2_b64 v[4:7], v87 offset0:54 offset1:90
	ds_read2_b64 v[48:51], v87 offset0:180 offset1:207
	;; [unrolled: 1-line block ×3, first 2 shown]
	ds_read_b64 v[56:57], v87 offset:1872
	s_and_saveexec_b64 s[2:3], s[0:1]
	s_xor_b64 s[2:3], exec, s[2:3]
	s_or_saveexec_b64 s[2:3], s[2:3]
	v_mov_b32_e32 v68, v12
	v_mov_b32_e32 v69, v12
	;; [unrolled: 1-line block ×18, first 2 shown]
	s_xor_b64 exec, exec, s[2:3]
	s_cbranch_execz .LBB0_19
; %bb.18:
	v_add_u32_e32 v0, 0x400, v87
	ds_read2_b64 v[0:3], v0 offset0:43 offset1:133
	ds_read_b64 v[52:53], v89 offset:648
	s_waitcnt lgkmcnt(1)
	v_mov_b32_e32 v54, v2
	v_mov_b32_e32 v55, v1
	;; [unrolled: 1-line block ×3, first 2 shown]
.LBB0_19:
	s_or_b64 exec, exec, s[2:3]
	s_waitcnt lgkmcnt(3)
	v_pk_mul_f32 v[2:3], v[12:13], v[6:7]
	s_waitcnt lgkmcnt(2)
	v_pk_mul_f32 v[12:13], v[14:15], v[48:49]
	;; [unrolled: 2-line block ×3, first 2 shown]
	v_pk_mul_f32 v[16:17], v[18:19], v[50:51]
	v_pk_mul_f32 v[18:19], v[32:33], v[10:11]
	s_waitcnt lgkmcnt(0)
	v_pk_mul_f32 v[32:33], v[34:35], v[56:57]
	v_pk_mul_f32 v[34:35], v[28:29], v[54:55] op_sel:[0,1]
	v_pk_mul_f32 v[70:71], v[30:31], v[0:1] op_sel:[0,1]
	v_pk_fma_f32 v[96:97], v[28:29], v[0:1], v[34:35] op_sel:[0,0,1] op_sel_hi:[1,1,0]
	v_pk_fma_f32 v[0:1], v[28:29], v[0:1], v[34:35] op_sel:[0,0,1] op_sel_hi:[1,0,0] neg_lo:[1,0,0] neg_hi:[1,0,0]
	v_pk_fma_f32 v[28:29], v[30:31], v[54:55], v[70:71] op_sel:[0,0,1] op_sel_hi:[1,0,0] neg_lo:[1,0,0] neg_hi:[1,0,0]
	v_mov_b32_e32 v97, v1
	v_pk_fma_f32 v[0:1], v[30:31], v[54:55], v[70:71] op_sel:[0,0,1] op_sel_hi:[1,1,0]
	s_mov_b32 s2, 0x3f5db3d7
	v_mov_b32_e32 v1, v29
	v_pk_add_f32 v[28:29], v[52:53], v[96:97]
	v_pk_add_f32 v[30:31], v[96:97], v[0:1]
	;; [unrolled: 1-line block ×3, first 2 shown]
	v_pk_add_f32 v[0:1], v[96:97], v[0:1] neg_lo:[0,1] neg_hi:[0,1]
	v_pk_fma_f32 v[34:35], v[30:31], 0.5, v[52:53] op_sel_hi:[1,0,1] neg_lo:[1,0,0] neg_hi:[1,0,0]
	v_pk_mul_f32 v[0:1], v[0:1], s[2:3] op_sel_hi:[1,0]
	s_nop 0
	v_pk_add_f32 v[30:31], v[0:1], v[34:35] op_sel:[1,0] op_sel_hi:[0,1]
	v_pk_add_f32 v[0:1], v[34:35], v[0:1] op_sel:[0,1] op_sel_hi:[1,0] neg_lo:[0,1] neg_hi:[0,1]
	v_pk_fma_f32 v[34:35], v[68:69], v[6:7], v[2:3] op_sel:[0,0,1] op_sel_hi:[1,1,0]
	v_pk_fma_f32 v[2:3], v[68:69], v[6:7], v[2:3] op_sel:[0,0,1] op_sel_hi:[1,1,0] neg_lo:[0,0,1] neg_hi:[0,0,1]
	v_pk_fma_f32 v[6:7], v[66:67], v[48:49], v[12:13] op_sel:[0,0,1] op_sel_hi:[1,1,0] neg_lo:[0,0,1] neg_hi:[0,0,1]
	v_mov_b32_e32 v35, v3
	v_pk_fma_f32 v[2:3], v[66:67], v[48:49], v[12:13] op_sel:[0,0,1] op_sel_hi:[1,1,0]
	s_barrier
	v_mov_b32_e32 v3, v7
	v_pk_add_f32 v[6:7], v[34:35], v[2:3]
	v_pk_add_f32 v[12:13], v[34:35], v[2:3] neg_lo:[0,1] neg_hi:[0,1]
	v_pk_fma_f32 v[6:7], v[6:7], 0.5, v[24:25] op_sel_hi:[1,0,1] neg_lo:[1,0,0] neg_hi:[1,0,0]
	v_pk_mul_f32 v[12:13], v[12:13], s[2:3] op_sel_hi:[1,0]
	s_nop 0
	v_pk_add_f32 v[48:49], v[6:7], v[12:13] op_sel:[0,1] op_sel_hi:[1,0]
	v_pk_add_f32 v[6:7], v[6:7], v[12:13] op_sel:[0,1] op_sel_hi:[1,0] neg_lo:[0,1] neg_hi:[0,1]
	v_pk_add_f32 v[12:13], v[24:25], v[34:35]
	s_nop 0
	v_pk_add_f32 v[2:3], v[12:13], v[2:3]
	v_mov_b32_e32 v12, v6
	v_mov_b32_e32 v13, v49
	ds_write2_b64 v87, v[2:3], v[12:13] offset1:30
	v_mov_b32_e32 v49, v7
	v_pk_fma_f32 v[2:3], v[64:65], v[8:9], v[14:15] op_sel:[0,0,1] op_sel_hi:[1,1,0]
	v_pk_fma_f32 v[6:7], v[64:65], v[8:9], v[14:15] op_sel:[0,0,1] op_sel_hi:[1,1,0] neg_lo:[0,0,1] neg_hi:[0,0,1]
	v_pk_fma_f32 v[8:9], v[62:63], v[50:51], v[16:17] op_sel:[0,0,1] op_sel_hi:[1,1,0] neg_lo:[0,0,1] neg_hi:[0,0,1]
	v_mov_b32_e32 v3, v7
	v_pk_fma_f32 v[6:7], v[62:63], v[50:51], v[16:17] op_sel:[0,0,1] op_sel_hi:[1,1,0]
	ds_write_b64 v87, v[48:49] offset:480
	v_mov_b32_e32 v7, v9
	v_pk_add_f32 v[8:9], v[26:27], v[2:3]
	v_pk_add_f32 v[12:13], v[2:3], v[6:7]
	v_pk_add_f32 v[2:3], v[2:3], v[6:7] neg_lo:[0,1] neg_hi:[0,1]
	v_pk_fma_f32 v[12:13], v[12:13], 0.5, v[26:27] op_sel_hi:[1,0,1] neg_lo:[1,0,0] neg_hi:[1,0,0]
	v_pk_mul_f32 v[2:3], v[2:3], s[2:3] op_sel_hi:[1,0]
	v_pk_add_f32 v[8:9], v[8:9], v[6:7]
	v_pk_add_f32 v[6:7], v[12:13], v[2:3] op_sel:[0,1] op_sel_hi:[1,0] neg_lo:[0,1] neg_hi:[0,1]
	v_pk_add_f32 v[2:3], v[12:13], v[2:3] op_sel:[0,1] op_sel_hi:[1,0]
	v_mov_b32_e32 v12, v6
	v_mov_b32_e32 v13, v3
	v_mov_b32_e32 v3, v7
	ds_write_b64 v118, v[2:3] offset:480
	v_pk_fma_f32 v[2:3], v[60:61], v[10:11], v[18:19] op_sel:[0,0,1] op_sel_hi:[1,1,0]
	v_pk_fma_f32 v[6:7], v[60:61], v[10:11], v[18:19] op_sel:[0,0,1] op_sel_hi:[1,1,0] neg_lo:[0,0,1] neg_hi:[0,0,1]
	ds_write2_b64 v118, v[8:9], v[12:13] offset1:30
	v_mov_b32_e32 v3, v7
	v_pk_fma_f32 v[6:7], v[58:59], v[56:57], v[32:33] op_sel:[0,0,1] op_sel_hi:[1,1,0]
	v_pk_fma_f32 v[8:9], v[58:59], v[56:57], v[32:33] op_sel:[0,0,1] op_sel_hi:[1,1,0] neg_lo:[0,0,1] neg_hi:[0,0,1]
	s_nop 0
	v_mov_b32_e32 v7, v9
	v_pk_add_f32 v[8:9], v[4:5], v[2:3]
	v_pk_add_f32 v[10:11], v[2:3], v[6:7]
	v_pk_add_f32 v[2:3], v[2:3], v[6:7] neg_lo:[0,1] neg_hi:[0,1]
	v_pk_fma_f32 v[4:5], v[10:11], 0.5, v[4:5] op_sel_hi:[1,0,1] neg_lo:[1,0,0] neg_hi:[1,0,0]
	v_pk_mul_f32 v[2:3], v[2:3], s[2:3] op_sel_hi:[1,0]
	v_pk_add_f32 v[8:9], v[8:9], v[6:7]
	v_pk_add_f32 v[6:7], v[4:5], v[2:3] op_sel:[0,1] op_sel_hi:[1,0] neg_lo:[0,1] neg_hi:[0,1]
	v_pk_add_f32 v[2:3], v[4:5], v[2:3] op_sel:[0,1] op_sel_hi:[1,0]
	v_mov_b32_e32 v4, v6
	v_mov_b32_e32 v5, v3
	;; [unrolled: 1-line block ×3, first 2 shown]
	ds_write2_b64 v119, v[8:9], v[4:5] offset1:30
	ds_write_b64 v119, v[2:3] offset:480
	s_and_saveexec_b64 s[2:3], vcc
	s_cbranch_execz .LBB0_21
; %bb.20:
	v_and_b32_e32 v2, 0xff, v114
	v_lshl_add_u32 v4, v2, 3, v112
	v_mov_b32_e32 v2, v0
	v_mov_b32_e32 v3, v31
	ds_write2_b64 v4, v[28:29], v[2:3] offset0:180 offset1:210
	v_mov_b32_e32 v2, v30
	v_mov_b32_e32 v3, v1
	ds_write_b64 v4, v[2:3] offset:1920
.LBB0_21:
	s_or_b64 exec, exec, s[2:3]
	s_waitcnt lgkmcnt(0)
	s_barrier
	ds_read2_b64 v[12:15], v87 offset1:27
	ds_read2_b64 v[4:7], v87 offset0:54 offset1:90
	ds_read2_b64 v[16:19], v87 offset0:180 offset1:207
	;; [unrolled: 1-line block ×3, first 2 shown]
	ds_read_b64 v[24:25], v87 offset:1872
	s_and_saveexec_b64 s[2:3], s[0:1]
	s_xor_b64 s[0:1], exec, s[2:3]
	s_or_saveexec_b64 s[0:1], s[0:1]
	v_mov_b32_e32 v52, v36
	v_mov_b32_e32 v53, v36
	;; [unrolled: 1-line block ×18, first 2 shown]
	v_add_u32_e32 v54, 0x1b0, v87
	s_xor_b64 exec, exec, s[0:1]
	s_cbranch_execz .LBB0_23
; %bb.22:
	v_add_u32_e32 v0, 0x400, v87
	ds_read2_b64 v[0:3], v0 offset0:43 offset1:133
	ds_read_b64 v[28:29], v89 offset:648
	s_waitcnt lgkmcnt(1)
	v_mov_b32_e32 v30, v2
	v_mov_b32_e32 v31, v1
	;; [unrolled: 1-line block ×3, first 2 shown]
.LBB0_23:
	s_or_b64 exec, exec, s[0:1]
	s_waitcnt lgkmcnt(3)
	v_pk_mul_f32 v[2:3], v[36:37], v[6:7]
	s_waitcnt lgkmcnt(2)
	v_pk_mul_f32 v[36:37], v[38:39], v[16:17]
	;; [unrolled: 2-line block ×3, first 2 shown]
	v_pk_mul_f32 v[40:41], v[42:43], v[18:19]
	v_pk_mul_f32 v[42:43], v[44:45], v[10:11]
	s_waitcnt lgkmcnt(0)
	v_pk_mul_f32 v[44:45], v[46:47], v[24:25]
	v_pk_fma_f32 v[46:47], v[52:53], v[6:7], v[2:3] op_sel:[0,0,1] op_sel_hi:[1,1,0]
	v_pk_fma_f32 v[2:3], v[52:53], v[6:7], v[2:3] op_sel:[0,0,1] op_sel_hi:[1,1,0] neg_lo:[0,0,1] neg_hi:[0,0,1]
	v_pk_fma_f32 v[6:7], v[50:51], v[16:17], v[36:37] op_sel:[0,0,1] op_sel_hi:[1,1,0] neg_lo:[0,0,1] neg_hi:[0,0,1]
	v_mov_b32_e32 v47, v3
	v_pk_fma_f32 v[2:3], v[50:51], v[16:17], v[36:37] op_sel:[0,0,1] op_sel_hi:[1,1,0]
	s_mov_b32 s0, 0x3f5db3d7
	v_mov_b32_e32 v3, v7
	v_pk_add_f32 v[6:7], v[12:13], v[46:47]
	s_nop 0
	v_pk_add_f32 v[6:7], v[6:7], v[2:3]
	ds_write_b64 v87, v[6:7]
	v_pk_add_f32 v[6:7], v[46:47], v[2:3]
	v_pk_add_f32 v[2:3], v[46:47], v[2:3] neg_lo:[0,1] neg_hi:[0,1]
	v_pk_fma_f32 v[6:7], v[6:7], 0.5, v[12:13] op_sel_hi:[1,0,1] neg_lo:[1,0,0] neg_hi:[1,0,0]
	v_pk_mul_f32 v[2:3], v[2:3], s[0:1] op_sel_hi:[1,0]
	s_nop 0
	v_pk_add_f32 v[12:13], v[6:7], v[2:3] op_sel:[0,1] op_sel_hi:[1,0] neg_lo:[0,1] neg_hi:[0,1]
	v_pk_add_f32 v[2:3], v[6:7], v[2:3] op_sel:[0,1] op_sel_hi:[1,0]
	v_mov_b32_e32 v6, v12
	v_mov_b32_e32 v7, v3
	;; [unrolled: 1-line block ×3, first 2 shown]
	ds_write_b64 v89, v[6:7] offset:720
	ds_write_b64 v89, v[2:3] offset:1440
	v_pk_fma_f32 v[2:3], v[48:49], v[8:9], v[38:39] op_sel:[0,0,1] op_sel_hi:[1,1,0]
	v_pk_fma_f32 v[6:7], v[48:49], v[8:9], v[38:39] op_sel:[0,0,1] op_sel_hi:[1,1,0] neg_lo:[0,0,1] neg_hi:[0,0,1]
	v_pk_fma_f32 v[8:9], v[34:35], v[18:19], v[40:41] op_sel:[0,0,1] op_sel_hi:[1,1,0] neg_lo:[0,0,1] neg_hi:[0,0,1]
	v_mov_b32_e32 v3, v7
	v_pk_fma_f32 v[6:7], v[34:35], v[18:19], v[40:41] op_sel:[0,0,1] op_sel_hi:[1,1,0]
	s_nop 0
	v_mov_b32_e32 v7, v9
	v_pk_add_f32 v[8:9], v[14:15], v[2:3]
	s_nop 0
	v_pk_add_f32 v[8:9], v[8:9], v[6:7]
	ds_write_b64 v87, v[8:9] offset:216
	v_pk_add_f32 v[8:9], v[2:3], v[6:7]
	v_pk_add_f32 v[2:3], v[2:3], v[6:7] neg_lo:[0,1] neg_hi:[0,1]
	v_pk_fma_f32 v[8:9], v[8:9], 0.5, v[14:15] op_sel_hi:[1,0,1] neg_lo:[1,0,0] neg_hi:[1,0,0]
	v_pk_mul_f32 v[2:3], v[2:3], s[0:1] op_sel_hi:[1,0]
	s_nop 0
	v_pk_add_f32 v[6:7], v[8:9], v[2:3] op_sel:[0,1] op_sel_hi:[1,0] neg_lo:[0,1] neg_hi:[0,1]
	v_pk_add_f32 v[2:3], v[8:9], v[2:3] op_sel:[0,1] op_sel_hi:[1,0]
	v_mov_b32_e32 v8, v6
	v_mov_b32_e32 v9, v3
	;; [unrolled: 1-line block ×3, first 2 shown]
	ds_write_b64 v89, v[2:3] offset:1656
	v_pk_fma_f32 v[2:3], v[32:33], v[10:11], v[42:43] op_sel:[0,0,1] op_sel_hi:[1,1,0]
	v_pk_fma_f32 v[6:7], v[32:33], v[10:11], v[42:43] op_sel:[0,0,1] op_sel_hi:[1,1,0] neg_lo:[0,0,1] neg_hi:[0,0,1]
	ds_write_b64 v89, v[8:9] offset:936
	v_mov_b32_e32 v3, v7
	v_pk_fma_f32 v[6:7], v[26:27], v[24:25], v[44:45] op_sel:[0,0,1] op_sel_hi:[1,1,0]
	v_pk_fma_f32 v[8:9], v[26:27], v[24:25], v[44:45] op_sel:[0,0,1] op_sel_hi:[1,1,0] neg_lo:[0,0,1] neg_hi:[0,0,1]
	s_nop 0
	v_mov_b32_e32 v7, v9
	v_pk_add_f32 v[8:9], v[4:5], v[2:3]
	s_nop 0
	v_pk_add_f32 v[8:9], v[8:9], v[6:7]
	ds_write_b64 v87, v[8:9] offset:432
	v_pk_add_f32 v[8:9], v[2:3], v[6:7]
	v_pk_add_f32 v[2:3], v[2:3], v[6:7] neg_lo:[0,1] neg_hi:[0,1]
	v_pk_fma_f32 v[4:5], v[8:9], 0.5, v[4:5] op_sel_hi:[1,0,1] neg_lo:[1,0,0] neg_hi:[1,0,0]
	v_pk_mul_f32 v[2:3], v[2:3], s[0:1] op_sel_hi:[1,0]
	s_nop 0
	v_pk_add_f32 v[6:7], v[4:5], v[2:3] op_sel:[0,1] op_sel_hi:[1,0] neg_lo:[0,1] neg_hi:[0,1]
	v_pk_add_f32 v[2:3], v[4:5], v[2:3] op_sel:[0,1] op_sel_hi:[1,0]
	v_mov_b32_e32 v4, v6
	v_mov_b32_e32 v5, v3
	;; [unrolled: 1-line block ×3, first 2 shown]
	ds_write2_b64 v54, v[4:5], v[2:3] offset0:90 offset1:180
	s_and_saveexec_b64 s[2:3], vcc
	s_cbranch_execz .LBB0_25
; %bb.24:
	v_pk_mul_f32 v[2:3], v[20:21], v[30:31] op_sel:[0,1]
	v_pk_mul_f32 v[4:5], v[22:23], v[0:1] op_sel:[0,1]
	v_pk_fma_f32 v[6:7], v[20:21], v[0:1], v[2:3] op_sel:[0,0,1] op_sel_hi:[1,1,0]
	v_pk_fma_f32 v[0:1], v[20:21], v[0:1], v[2:3] op_sel:[0,0,1] op_sel_hi:[1,0,0] neg_lo:[1,0,0] neg_hi:[1,0,0]
	v_pk_fma_f32 v[2:3], v[22:23], v[30:31], v[4:5] op_sel:[0,0,1] op_sel_hi:[1,0,0] neg_lo:[1,0,0] neg_hi:[1,0,0]
	v_mov_b32_e32 v7, v1
	v_pk_fma_f32 v[0:1], v[22:23], v[30:31], v[4:5] op_sel:[0,0,1] op_sel_hi:[1,1,0]
	s_nop 0
	v_mov_b32_e32 v1, v3
	v_pk_add_f32 v[2:3], v[28:29], v[6:7]
	s_nop 0
	v_pk_add_f32 v[2:3], v[2:3], v[0:1]
	ds_write_b64 v89, v[2:3] offset:648
	v_pk_add_f32 v[2:3], v[6:7], v[0:1]
	v_pk_add_f32 v[0:1], v[6:7], v[0:1] neg_lo:[0,1] neg_hi:[0,1]
	v_pk_fma_f32 v[2:3], -0.5, v[2:3], v[28:29] op_sel_hi:[0,1,1]
	v_pk_mul_f32 v[0:1], v[0:1], s[0:1] op_sel_hi:[1,0]
	s_nop 0
	v_pk_add_f32 v[4:5], v[2:3], v[0:1] op_sel:[0,1] op_sel_hi:[1,0] neg_lo:[0,1] neg_hi:[0,1]
	v_pk_add_f32 v[0:1], v[2:3], v[0:1] op_sel:[0,1] op_sel_hi:[1,0]
	v_mov_b32_e32 v2, v4
	v_mov_b32_e32 v3, v1
	;; [unrolled: 1-line block ×3, first 2 shown]
	v_add_u32_e32 v4, 0x400, v89
	ds_write2_b64 v4, v[2:3], v[0:1] offset0:43 offset1:133
.LBB0_25:
	s_or_b64 exec, exec, s[2:3]
	s_waitcnt lgkmcnt(0)
	s_barrier
	ds_read2_b64 v[0:3], v87 offset1:27
	v_mad_u64_u32 v[6:7], s[0:1], s6, v86, 0
	v_mov_b32_e32 v8, v7
	v_mad_u64_u32 v[8:9], s[0:1], s7, v86, v[8:9]
	v_mov_b32_e32 v7, v8
	s_waitcnt lgkmcnt(0)
	v_mul_f32_e32 v8, v95, v1
	v_fmac_f32_e32 v8, v94, v0
	v_mul_f32_e32 v0, v95, v0
	s_mov_b32 s0, 0xc901e574
	v_fma_f32 v0, v94, v1, -v0
	v_cvt_f64_f32_e32 v[8:9], v8
	s_mov_b32 s1, 0x3f6e573a
	v_cvt_f64_f32_e32 v[0:1], v0
	v_mul_f64 v[8:9], v[8:9], s[0:1]
	v_mul_f64 v[0:1], v[0:1], s[0:1]
	v_cvt_f32_f64_e32 v8, v[8:9]
	v_cvt_f32_f64_e32 v9, v[0:1]
	v_mad_u64_u32 v[0:1], s[2:3], s4, v88, 0
	v_mov_b32_e32 v10, v1
	v_mov_b32_e32 v4, s12
	;; [unrolled: 1-line block ×3, first 2 shown]
	v_mad_u64_u32 v[10:11], s[2:3], s5, v88, v[10:11]
	v_mov_b32_e32 v1, v10
	v_lshl_add_u64 v[4:5], v[6:7], 3, v[4:5]
	v_lshl_add_u64 v[4:5], v[0:1], 3, v[4:5]
	v_mul_f32_e32 v0, v93, v3
	v_fmac_f32_e32 v0, v92, v2
	v_cvt_f64_f32_e32 v[0:1], v0
	v_mul_f64 v[0:1], v[0:1], s[0:1]
	v_cvt_f32_f64_e32 v6, v[0:1]
	v_mul_f32_e32 v0, v93, v2
	v_fma_f32 v0, v92, v3, -v0
	v_cvt_f64_f32_e32 v[0:1], v0
	v_mul_f64 v[0:1], v[0:1], s[0:1]
	v_cvt_f32_f64_e32 v7, v[0:1]
	ds_read2_b64 v[0:3], v87 offset0:54 offset1:108
	v_mov_b32_e32 v10, 0xd8
	global_store_dwordx2 v[4:5], v[8:9], off
	v_mad_u64_u32 v[4:5], s[2:3], s4, v10, v[4:5]
	s_mul_i32 s2, s5, 0xd8
	s_nop 0
	v_add_u32_e32 v5, s2, v5
	global_store_dwordx2 v[4:5], v[6:7], off
	s_waitcnt lgkmcnt(0)
	v_mul_f32_e32 v6, v91, v1
	v_fmac_f32_e32 v6, v90, v0
	v_mul_f32_e32 v0, v91, v0
	v_fma_f32 v0, v90, v1, -v0
	v_cvt_f64_f32_e32 v[6:7], v6
	v_cvt_f64_f32_e32 v[0:1], v0
	v_mul_f64 v[6:7], v[6:7], s[0:1]
	v_mul_f64 v[0:1], v[0:1], s[0:1]
	v_cvt_f32_f64_e32 v6, v[6:7]
	v_cvt_f32_f64_e32 v7, v[0:1]
	ds_read_b64 v[0:1], v89 offset:648
	v_mad_u64_u32 v[4:5], s[6:7], s4, v10, v[4:5]
	v_add_u32_e32 v5, s2, v5
	global_store_dwordx2 v[4:5], v[6:7], off
	ds_read_b64 v[6:7], v87 offset:1944
	s_waitcnt lgkmcnt(1)
	v_mul_f32_e32 v8, v73, v1
	v_fmac_f32_e32 v8, v72, v0
	v_mul_f32_e32 v0, v73, v0
	v_fma_f32 v0, v72, v1, -v0
	v_cvt_f64_f32_e32 v[8:9], v8
	v_cvt_f64_f32_e32 v[0:1], v0
	v_mul_f64 v[8:9], v[8:9], s[0:1]
	v_mul_f64 v[0:1], v[0:1], s[0:1]
	v_cvt_f32_f64_e32 v8, v[8:9]
	v_cvt_f32_f64_e32 v9, v[0:1]
	v_mul_f32_e32 v0, v81, v3
	v_fmac_f32_e32 v0, v80, v2
	v_mad_u64_u32 v[4:5], s[6:7], s4, v10, v[4:5]
	v_cvt_f64_f32_e32 v[0:1], v0
	v_add_u32_e32 v5, s2, v5
	v_mul_f64 v[0:1], v[0:1], s[0:1]
	global_store_dwordx2 v[4:5], v[8:9], off
	v_cvt_f32_f64_e32 v8, v[0:1]
	v_mul_f32_e32 v0, v81, v2
	v_fma_f32 v0, v80, v3, -v0
	v_cvt_f64_f32_e32 v[0:1], v0
	v_mul_f64 v[0:1], v[0:1], s[0:1]
	v_cvt_f32_f64_e32 v9, v[0:1]
	ds_read2_b64 v[0:3], v87 offset0:135 offset1:162
	v_mad_u64_u32 v[4:5], s[6:7], s4, v10, v[4:5]
	v_add_u32_e32 v5, s2, v5
	global_store_dwordx2 v[4:5], v[8:9], off
	s_waitcnt lgkmcnt(0)
	v_mul_f32_e32 v8, v83, v1
	v_fmac_f32_e32 v8, v82, v0
	v_mul_f32_e32 v0, v83, v0
	v_fma_f32 v0, v82, v1, -v0
	v_cvt_f64_f32_e32 v[8:9], v8
	v_cvt_f64_f32_e32 v[0:1], v0
	v_mul_f64 v[8:9], v[8:9], s[0:1]
	v_mul_f64 v[0:1], v[0:1], s[0:1]
	v_cvt_f32_f64_e32 v8, v[8:9]
	v_cvt_f32_f64_e32 v9, v[0:1]
	v_mul_f32_e32 v0, v85, v3
	v_fmac_f32_e32 v0, v84, v2
	v_mad_u64_u32 v[4:5], s[6:7], s4, v10, v[4:5]
	v_cvt_f64_f32_e32 v[0:1], v0
	v_add_u32_e32 v5, s2, v5
	v_mul_f64 v[0:1], v[0:1], s[0:1]
	global_store_dwordx2 v[4:5], v[8:9], off
	v_cvt_f32_f64_e32 v8, v[0:1]
	v_mul_f32_e32 v0, v85, v2
	v_fma_f32 v0, v84, v3, -v0
	v_cvt_f64_f32_e32 v[0:1], v0
	v_mul_f64 v[0:1], v[0:1], s[0:1]
	v_cvt_f32_f64_e32 v9, v[0:1]
	ds_read2_b64 v[0:3], v87 offset0:189 offset1:216
	v_mad_u64_u32 v[4:5], s[6:7], s4, v10, v[4:5]
	v_add_u32_e32 v5, s2, v5
	global_store_dwordx2 v[4:5], v[8:9], off
	s_waitcnt lgkmcnt(0)
	v_mul_f32_e32 v8, v75, v1
	v_fmac_f32_e32 v8, v74, v0
	v_mul_f32_e32 v0, v75, v0
	v_fma_f32 v0, v74, v1, -v0
	v_cvt_f64_f32_e32 v[8:9], v8
	v_cvt_f64_f32_e32 v[0:1], v0
	v_mul_f64 v[8:9], v[8:9], s[0:1]
	v_mul_f64 v[0:1], v[0:1], s[0:1]
	v_cvt_f32_f64_e32 v8, v[8:9]
	v_cvt_f32_f64_e32 v9, v[0:1]
	v_mad_u64_u32 v[0:1], s[6:7], s4, v10, v[4:5]
	v_mul_f32_e32 v4, v79, v3
	v_fmac_f32_e32 v4, v78, v2
	v_mul_f32_e32 v2, v79, v2
	v_fma_f32 v2, v78, v3, -v2
	v_cvt_f64_f32_e32 v[4:5], v4
	v_cvt_f64_f32_e32 v[2:3], v2
	v_mul_f64 v[4:5], v[4:5], s[0:1]
	v_mul_f64 v[2:3], v[2:3], s[0:1]
	v_cvt_f32_f64_e32 v4, v[4:5]
	v_cvt_f32_f64_e32 v5, v[2:3]
	v_mul_f32_e32 v2, v77, v7
	v_fmac_f32_e32 v2, v76, v6
	v_cvt_f64_f32_e32 v[2:3], v2
	v_add_u32_e32 v1, s2, v1
	v_mul_f64 v[2:3], v[2:3], s[0:1]
	global_store_dwordx2 v[0:1], v[8:9], off
	v_mad_u64_u32 v[0:1], s[6:7], s4, v10, v[0:1]
	v_cvt_f32_f64_e32 v2, v[2:3]
	v_mul_f32_e32 v3, v77, v6
	v_add_u32_e32 v1, s2, v1
	v_fma_f32 v3, v76, v7, -v3
	global_store_dwordx2 v[0:1], v[4:5], off
	v_cvt_f64_f32_e32 v[4:5], v3
	v_mul_f64 v[4:5], v[4:5], s[0:1]
	v_mad_u64_u32 v[0:1], s[0:1], s4, v10, v[0:1]
	v_cvt_f32_f64_e32 v3, v[4:5]
	v_add_u32_e32 v1, s2, v1
	global_store_dwordx2 v[0:1], v[2:3], off
.LBB0_26:
	s_endpgm
	.section	.rodata,"a",@progbits
	.p2align	6, 0x0
	.amdhsa_kernel bluestein_single_fwd_len270_dim1_sp_op_CI_CI
		.amdhsa_group_segment_fixed_size 8640
		.amdhsa_private_segment_fixed_size 0
		.amdhsa_kernarg_size 104
		.amdhsa_user_sgpr_count 2
		.amdhsa_user_sgpr_dispatch_ptr 0
		.amdhsa_user_sgpr_queue_ptr 0
		.amdhsa_user_sgpr_kernarg_segment_ptr 1
		.amdhsa_user_sgpr_dispatch_id 0
		.amdhsa_user_sgpr_kernarg_preload_length 0
		.amdhsa_user_sgpr_kernarg_preload_offset 0
		.amdhsa_user_sgpr_private_segment_size 0
		.amdhsa_uses_dynamic_stack 0
		.amdhsa_enable_private_segment 0
		.amdhsa_system_sgpr_workgroup_id_x 1
		.amdhsa_system_sgpr_workgroup_id_y 0
		.amdhsa_system_sgpr_workgroup_id_z 0
		.amdhsa_system_sgpr_workgroup_info 0
		.amdhsa_system_vgpr_workitem_id 0
		.amdhsa_next_free_vgpr 139
		.amdhsa_next_free_sgpr 20
		.amdhsa_accum_offset 140
		.amdhsa_reserve_vcc 1
		.amdhsa_float_round_mode_32 0
		.amdhsa_float_round_mode_16_64 0
		.amdhsa_float_denorm_mode_32 3
		.amdhsa_float_denorm_mode_16_64 3
		.amdhsa_dx10_clamp 1
		.amdhsa_ieee_mode 1
		.amdhsa_fp16_overflow 0
		.amdhsa_tg_split 0
		.amdhsa_exception_fp_ieee_invalid_op 0
		.amdhsa_exception_fp_denorm_src 0
		.amdhsa_exception_fp_ieee_div_zero 0
		.amdhsa_exception_fp_ieee_overflow 0
		.amdhsa_exception_fp_ieee_underflow 0
		.amdhsa_exception_fp_ieee_inexact 0
		.amdhsa_exception_int_div_zero 0
	.end_amdhsa_kernel
	.text
.Lfunc_end0:
	.size	bluestein_single_fwd_len270_dim1_sp_op_CI_CI, .Lfunc_end0-bluestein_single_fwd_len270_dim1_sp_op_CI_CI
                                        ; -- End function
	.section	.AMDGPU.csdata,"",@progbits
; Kernel info:
; codeLenInByte = 9492
; NumSgprs: 26
; NumVgprs: 139
; NumAgprs: 0
; TotalNumVgprs: 139
; ScratchSize: 0
; MemoryBound: 0
; FloatMode: 240
; IeeeMode: 1
; LDSByteSize: 8640 bytes/workgroup (compile time only)
; SGPRBlocks: 3
; VGPRBlocks: 17
; NumSGPRsForWavesPerEU: 26
; NumVGPRsForWavesPerEU: 139
; AccumOffset: 140
; Occupancy: 3
; WaveLimiterHint : 1
; COMPUTE_PGM_RSRC2:SCRATCH_EN: 0
; COMPUTE_PGM_RSRC2:USER_SGPR: 2
; COMPUTE_PGM_RSRC2:TRAP_HANDLER: 0
; COMPUTE_PGM_RSRC2:TGID_X_EN: 1
; COMPUTE_PGM_RSRC2:TGID_Y_EN: 0
; COMPUTE_PGM_RSRC2:TGID_Z_EN: 0
; COMPUTE_PGM_RSRC2:TIDIG_COMP_CNT: 0
; COMPUTE_PGM_RSRC3_GFX90A:ACCUM_OFFSET: 34
; COMPUTE_PGM_RSRC3_GFX90A:TG_SPLIT: 0
	.text
	.p2alignl 6, 3212836864
	.fill 256, 4, 3212836864
	.type	__hip_cuid_68a9b83424a94ebd,@object ; @__hip_cuid_68a9b83424a94ebd
	.section	.bss,"aw",@nobits
	.globl	__hip_cuid_68a9b83424a94ebd
__hip_cuid_68a9b83424a94ebd:
	.byte	0                               ; 0x0
	.size	__hip_cuid_68a9b83424a94ebd, 1

	.ident	"AMD clang version 19.0.0git (https://github.com/RadeonOpenCompute/llvm-project roc-6.4.0 25133 c7fe45cf4b819c5991fe208aaa96edf142730f1d)"
	.section	".note.GNU-stack","",@progbits
	.addrsig
	.addrsig_sym __hip_cuid_68a9b83424a94ebd
	.amdgpu_metadata
---
amdhsa.kernels:
  - .agpr_count:     0
    .args:
      - .actual_access:  read_only
        .address_space:  global
        .offset:         0
        .size:           8
        .value_kind:     global_buffer
      - .actual_access:  read_only
        .address_space:  global
        .offset:         8
        .size:           8
        .value_kind:     global_buffer
      - .actual_access:  read_only
        .address_space:  global
        .offset:         16
        .size:           8
        .value_kind:     global_buffer
      - .actual_access:  read_only
        .address_space:  global
        .offset:         24
        .size:           8
        .value_kind:     global_buffer
      - .actual_access:  read_only
        .address_space:  global
        .offset:         32
        .size:           8
        .value_kind:     global_buffer
      - .offset:         40
        .size:           8
        .value_kind:     by_value
      - .address_space:  global
        .offset:         48
        .size:           8
        .value_kind:     global_buffer
      - .address_space:  global
        .offset:         56
        .size:           8
        .value_kind:     global_buffer
      - .address_space:  global
        .offset:         64
        .size:           8
        .value_kind:     global_buffer
      - .address_space:  global
        .offset:         72
        .size:           8
        .value_kind:     global_buffer
      - .offset:         80
        .size:           4
        .value_kind:     by_value
      - .address_space:  global
        .offset:         88
        .size:           8
        .value_kind:     global_buffer
      - .address_space:  global
        .offset:         96
        .size:           8
        .value_kind:     global_buffer
    .group_segment_fixed_size: 8640
    .kernarg_segment_align: 8
    .kernarg_segment_size: 104
    .language:       OpenCL C
    .language_version:
      - 2
      - 0
    .max_flat_workgroup_size: 108
    .name:           bluestein_single_fwd_len270_dim1_sp_op_CI_CI
    .private_segment_fixed_size: 0
    .sgpr_count:     26
    .sgpr_spill_count: 0
    .symbol:         bluestein_single_fwd_len270_dim1_sp_op_CI_CI.kd
    .uniform_work_group_size: 1
    .uses_dynamic_stack: false
    .vgpr_count:     139
    .vgpr_spill_count: 0
    .wavefront_size: 64
amdhsa.target:   amdgcn-amd-amdhsa--gfx950
amdhsa.version:
  - 1
  - 2
...

	.end_amdgpu_metadata
